;; amdgpu-corpus repo=zjin-lcf/HeCBench kind=compiled arch=gfx906 opt=O3
	.amdgcn_target "amdgcn-amd-amdhsa--gfx906"
	.amdhsa_code_object_version 6
	.text
	.protected	_Z5task1PdS_ii          ; -- Begin function _Z5task1PdS_ii
	.globl	_Z5task1PdS_ii
	.p2align	8
	.type	_Z5task1PdS_ii,@function
_Z5task1PdS_ii:                         ; @_Z5task1PdS_ii
; %bb.0:
	s_mov_b64 s[98:99], s[2:3]
	s_mov_b64 s[96:97], s[0:1]
	s_load_dwordx4 s[0:3], s[4:5], 0x8
	s_load_dword s10, s[4:5], 0x18
	s_load_dword s11, s[4:5], 0x24
	s_add_u32 s96, s96, s8
	s_addc_u32 s97, s97, 0
	s_add_u32 s8, s4, 24
	s_waitcnt lgkmcnt(0)
	s_mul_i32 s2, s10, s2
	s_addc_u32 s9, s5, 0
	s_and_b32 s10, s11, 0xffff
	s_add_i32 s2, s2, s6
	s_mul_i32 s2, s2, s10
	v_add_u32_e32 v0, s2, v0
	s_load_dwordx2 s[12:13], s[0:1], 0x10
	v_cvt_f64_u32_e32 v[2:3], v0
	s_waitcnt lgkmcnt(0)
	v_cmp_nle_f64_e32 vcc, s[12:13], v[2:3]
	s_and_saveexec_b64 s[10:11], vcc
	s_cbranch_execz .LBB0_148
; %bb.1:
	s_load_dword s2, s[8:9], 0x4
	s_load_dword s6, s[8:9], 0xc
	s_waitcnt lgkmcnt(0)
	s_mul_i32 s2, s2, s3
	s_lshr_b32 s3, s6, 16
	s_add_i32 s2, s2, s7
	s_mul_i32 s2, s2, s3
	v_add_u32_e32 v1, s2, v1
	v_cvt_f64_u32_e32 v[4:5], v1
	v_cmp_nle_f64_e32 vcc, s[12:13], v[4:5]
	s_and_b64 exec, exec, vcc
	s_cbranch_execz .LBB0_148
; %bb.2:
	buffer_store_dword v1, off, s[96:99], 0 offset:72 ; 4-byte Folded Spill
	buffer_store_dword v0, off, s[96:99], 0 offset:16 ; 4-byte Folded Spill
	s_load_dwordx4 s[8:11], s[0:1], 0x0
	v_mov_b32_e32 v0, 0xa1fae712
	v_mov_b32_e32 v1, 0x3f91df46
	s_mov_b32 s0, 0
	s_mov_b32 s1, 0x41d00000
	s_waitcnt lgkmcnt(0)
	v_mul_f64 v[0:1], s[10:11], v[0:1]
	v_trig_preop_f64 v[7:8], |v[0:1]|, 0
	v_trig_preop_f64 v[56:57], |v[0:1]|, 1
	;; [unrolled: 1-line block ×3, first 2 shown]
	v_cmp_nlt_f64_e64 s[6:7], |v[0:1]|, s[0:1]
	s_and_b64 vcc, exec, s[6:7]
	s_cbranch_vccz .LBB0_4
; %bb.3:
	s_mov_b32 s0, 0
	s_mov_b32 s1, 0x7b000000
	s_movk_i32 s2, 0xff80
	v_ldexp_f64 v[12:13], |v[0:1]|, s2
	v_cmp_ge_f64_e64 vcc, |v[0:1]|, s[0:1]
	v_and_b32_e32 v6, 0x7fffffff, v1
	s_mov_b32 s0, 0
	s_mov_b32 s1, 0x7ff00000
	;; [unrolled: 1-line block ×3, first 2 shown]
	v_cndmask_b32_e32 v13, v6, v13, vcc
	v_cndmask_b32_e32 v12, v0, v12, vcc
	v_mul_f64 v[14:15], v[7:8], v[12:13]
	v_mul_f64 v[16:17], v[56:57], v[12:13]
	;; [unrolled: 1-line block ×3, first 2 shown]
	v_fma_f64 v[18:19], v[7:8], v[12:13], -v[14:15]
	v_fma_f64 v[28:29], v[56:57], v[12:13], -v[16:17]
	v_fma_f64 v[12:13], v[60:61], v[12:13], -v[26:27]
	v_add_f64 v[20:21], v[16:17], v[18:19]
	v_add_f64 v[22:23], v[20:21], -v[16:17]
	v_add_f64 v[30:31], v[14:15], v[20:21]
	v_add_f64 v[24:25], v[20:21], -v[22:23]
	v_add_f64 v[18:19], v[18:19], -v[22:23]
	v_add_f64 v[22:23], v[26:27], v[28:29]
	v_add_f64 v[14:15], v[30:31], -v[14:15]
	v_add_f64 v[16:17], v[16:17], -v[24:25]
	v_ldexp_f64 v[24:25], v[30:31], -2
	v_add_f64 v[14:15], v[20:21], -v[14:15]
	v_add_f64 v[16:17], v[18:19], v[16:17]
	v_fract_f64_e32 v[18:19], v[24:25]
	v_cmp_neq_f64_e64 vcc, |v[24:25]|, s[0:1]
	v_add_f64 v[20:21], v[22:23], v[16:17]
	v_ldexp_f64 v[18:19], v[18:19], 2
	v_add_f64 v[24:25], v[14:15], v[20:21]
	v_cndmask_b32_e32 v19, 0, v19, vcc
	v_cndmask_b32_e32 v18, 0, v18, vcc
	v_add_f64 v[32:33], v[20:21], -v[22:23]
	v_add_f64 v[30:31], v[24:25], v[18:19]
	v_add_f64 v[14:15], v[24:25], -v[14:15]
	v_add_f64 v[36:37], v[20:21], -v[32:33]
	;; [unrolled: 1-line block ×3, first 2 shown]
	v_cmp_gt_f64_e32 vcc, 0, v[30:31]
	v_add_f64 v[30:31], v[22:23], -v[26:27]
	v_add_f64 v[14:15], v[20:21], -v[14:15]
	s_and_b64 s[0:1], vcc, exec
	s_cselect_b32 s3, 0x40100000, 0
	v_add_f64 v[18:19], v[18:19], s[2:3]
	v_add_f64 v[34:35], v[22:23], -v[30:31]
	v_add_f64 v[28:29], v[28:29], -v[30:31]
	;; [unrolled: 1-line block ×3, first 2 shown]
	v_add_f64 v[38:39], v[24:25], v[18:19]
	v_add_f64 v[30:31], v[26:27], -v[34:35]
	v_add_f64 v[16:17], v[16:17], v[22:23]
	v_cvt_i32_f64_e32 v6, v[38:39]
	v_add_f64 v[28:29], v[28:29], v[30:31]
	v_cvt_f64_i32_e32 v[32:33], v6
	v_add_f64 v[18:19], v[18:19], -v[32:33]
	v_add_f64 v[16:17], v[28:29], v[16:17]
	v_add_f64 v[22:23], v[24:25], v[18:19]
	;; [unrolled: 1-line block ×3, first 2 shown]
	v_add_f64 v[16:17], v[22:23], -v[18:19]
	v_cmp_le_f64_e32 vcc, 0.5, v[22:23]
	v_add_f64 v[12:13], v[14:15], v[12:13]
	v_add_f64 v[14:15], v[24:25], -v[16:17]
	s_and_b64 s[0:1], vcc, exec
	s_cselect_b32 s3, 0x3ff00000, 0
	v_addc_co_u32_e64 v32, s[0:1], 0, v6, vcc
	s_mov_b32 s0, 0x54442d18
	s_mov_b32 s1, 0x3ff921fb
	v_add_f64 v[12:13], v[12:13], v[14:15]
	v_add_f64 v[14:15], v[22:23], -s[2:3]
	s_mov_b32 s2, 0x33145c07
	s_mov_b32 s3, 0x3c91a626
	v_add_f64 v[16:17], v[14:15], v[12:13]
	v_mul_f64 v[20:21], v[16:17], s[0:1]
	v_add_f64 v[14:15], v[16:17], -v[14:15]
	v_fma_f64 v[18:19], v[16:17], s[0:1], -v[20:21]
	v_add_f64 v[12:13], v[12:13], -v[14:15]
	v_fma_f64 v[14:15], v[16:17], s[2:3], v[18:19]
	v_fma_f64 v[12:13], v[12:13], s[0:1], v[14:15]
	v_add_f64 v[18:19], v[20:21], v[12:13]
	v_add_f64 v[14:15], v[18:19], -v[20:21]
	v_add_f64 v[24:25], v[12:13], -v[14:15]
	s_cbranch_execz .LBB0_5
	s_branch .LBB0_6
.LBB0_4:
                                        ; implicit-def: $vgpr32
                                        ; implicit-def: $vgpr18_vgpr19
                                        ; implicit-def: $vgpr24_vgpr25
.LBB0_5:
	s_mov_b32 s0, 0x6dc9c883
	s_mov_b32 s1, 0x3fe45f30
	v_mul_f64 v[12:13], |v[0:1]|, s[0:1]
	s_mov_b32 s0, 0x54442d18
	s_mov_b32 s1, 0xbff921fb
	;; [unrolled: 1-line block ×4, first 2 shown]
	v_rndne_f64_e32 v[12:13], v[12:13]
	v_fma_f64 v[14:15], v[12:13], s[0:1], |v[0:1]|
	v_mul_f64 v[16:17], v[12:13], s[2:3]
	s_mov_b32 s0, 0x252049c0
	s_mov_b32 s1, 0xb97b839a
	v_cvt_i32_f64_e32 v32, v[12:13]
	v_add_f64 v[18:19], v[14:15], v[16:17]
	v_add_f64 v[20:21], v[14:15], -v[18:19]
	v_fma_f64 v[14:15], v[12:13], s[2:3], v[14:15]
	s_mov_b32 s3, 0x3c91a626
	v_add_f64 v[20:21], v[20:21], v[16:17]
	v_add_f64 v[18:19], v[18:19], -v[14:15]
	v_fma_f64 v[16:17], v[12:13], s[2:3], v[16:17]
	v_add_f64 v[18:19], v[18:19], v[20:21]
	v_add_f64 v[16:17], v[18:19], -v[16:17]
	v_fma_f64 v[16:17], v[12:13], s[0:1], v[16:17]
	v_add_f64 v[18:19], v[14:15], v[16:17]
	v_add_f64 v[14:15], v[18:19], -v[14:15]
	v_add_f64 v[24:25], v[16:17], -v[14:15]
.LBB0_6:
	s_and_b64 vcc, exec, s[6:7]
	s_cbranch_vccz .LBB0_8
; %bb.7:
	s_mov_b32 s0, 0
	s_mov_b32 s1, 0x7b000000
	s_movk_i32 s2, 0xff80
	v_ldexp_f64 v[12:13], |v[0:1]|, s2
	v_cmp_ge_f64_e64 vcc, |v[0:1]|, s[0:1]
	v_and_b32_e32 v6, 0x7fffffff, v1
	s_mov_b32 s0, 0
	s_mov_b32 s1, 0x7ff00000
	;; [unrolled: 1-line block ×3, first 2 shown]
	v_cndmask_b32_e32 v13, v6, v13, vcc
	v_cndmask_b32_e32 v12, v0, v12, vcc
	v_mul_f64 v[14:15], v[7:8], v[12:13]
	v_mul_f64 v[16:17], v[56:57], v[12:13]
	;; [unrolled: 1-line block ×3, first 2 shown]
	v_fma_f64 v[20:21], v[7:8], v[12:13], -v[14:15]
	v_fma_f64 v[33:34], v[56:57], v[12:13], -v[16:17]
	;; [unrolled: 1-line block ×3, first 2 shown]
	v_add_f64 v[22:23], v[16:17], v[20:21]
	v_add_f64 v[26:27], v[22:23], -v[16:17]
	v_add_f64 v[35:36], v[14:15], v[22:23]
	v_add_f64 v[28:29], v[22:23], -v[26:27]
	v_add_f64 v[20:21], v[20:21], -v[26:27]
	v_add_f64 v[26:27], v[30:31], v[33:34]
	v_add_f64 v[14:15], v[35:36], -v[14:15]
	v_add_f64 v[16:17], v[16:17], -v[28:29]
	v_ldexp_f64 v[28:29], v[35:36], -2
	v_add_f64 v[14:15], v[22:23], -v[14:15]
	v_add_f64 v[16:17], v[20:21], v[16:17]
	v_fract_f64_e32 v[20:21], v[28:29]
	v_cmp_neq_f64_e64 vcc, |v[28:29]|, s[0:1]
	v_add_f64 v[22:23], v[26:27], v[16:17]
	v_ldexp_f64 v[20:21], v[20:21], 2
	v_add_f64 v[28:29], v[14:15], v[22:23]
	v_cndmask_b32_e32 v21, 0, v21, vcc
	v_cndmask_b32_e32 v20, 0, v20, vcc
	v_add_f64 v[37:38], v[22:23], -v[26:27]
	v_add_f64 v[35:36], v[28:29], v[20:21]
	v_add_f64 v[14:15], v[28:29], -v[14:15]
	v_add_f64 v[41:42], v[22:23], -v[37:38]
	;; [unrolled: 1-line block ×3, first 2 shown]
	v_cmp_gt_f64_e32 vcc, 0, v[35:36]
	v_add_f64 v[35:36], v[26:27], -v[30:31]
	v_add_f64 v[14:15], v[22:23], -v[14:15]
	s_and_b64 s[0:1], vcc, exec
	s_cselect_b32 s3, 0x40100000, 0
	v_add_f64 v[20:21], v[20:21], s[2:3]
	v_add_f64 v[39:40], v[26:27], -v[35:36]
	v_add_f64 v[33:34], v[33:34], -v[35:36]
	;; [unrolled: 1-line block ×3, first 2 shown]
	v_add_f64 v[43:44], v[28:29], v[20:21]
	v_add_f64 v[35:36], v[30:31], -v[39:40]
	v_add_f64 v[16:17], v[16:17], v[26:27]
	v_cvt_i32_f64_e32 v6, v[43:44]
	v_add_f64 v[33:34], v[33:34], v[35:36]
	v_cvt_f64_i32_e32 v[37:38], v6
	v_add_f64 v[20:21], v[20:21], -v[37:38]
	v_add_f64 v[16:17], v[33:34], v[16:17]
	v_add_f64 v[26:27], v[28:29], v[20:21]
	;; [unrolled: 1-line block ×3, first 2 shown]
	v_add_f64 v[16:17], v[26:27], -v[20:21]
	v_cmp_le_f64_e32 vcc, 0.5, v[26:27]
	v_add_f64 v[12:13], v[14:15], v[12:13]
	v_add_f64 v[14:15], v[28:29], -v[16:17]
	s_and_b64 s[0:1], vcc, exec
	s_cselect_b32 s3, 0x3ff00000, 0
	v_addc_co_u32_e64 v34, s[0:1], 0, v6, vcc
	s_mov_b32 s0, 0x54442d18
	s_mov_b32 s1, 0x3ff921fb
	v_add_f64 v[12:13], v[12:13], v[14:15]
	v_add_f64 v[14:15], v[26:27], -s[2:3]
	s_mov_b32 s2, 0x33145c07
	s_mov_b32 s3, 0x3c91a626
	v_add_f64 v[16:17], v[14:15], v[12:13]
	v_mul_f64 v[20:21], v[16:17], s[0:1]
	v_add_f64 v[14:15], v[16:17], -v[14:15]
	v_fma_f64 v[22:23], v[16:17], s[0:1], -v[20:21]
	v_add_f64 v[12:13], v[12:13], -v[14:15]
	v_fma_f64 v[14:15], v[16:17], s[2:3], v[22:23]
	v_fma_f64 v[14:15], v[12:13], s[0:1], v[14:15]
	v_add_f64 v[12:13], v[20:21], v[14:15]
	v_add_f64 v[16:17], v[12:13], -v[20:21]
	v_add_f64 v[14:15], v[14:15], -v[16:17]
	s_cbranch_execz .LBB0_9
	s_branch .LBB0_10
.LBB0_8:
                                        ; implicit-def: $vgpr34
                                        ; implicit-def: $vgpr12_vgpr13
                                        ; implicit-def: $vgpr14_vgpr15
.LBB0_9:
	s_mov_b32 s0, 0x6dc9c883
	s_mov_b32 s1, 0x3fe45f30
	v_mul_f64 v[12:13], |v[0:1]|, s[0:1]
	s_mov_b32 s0, 0x54442d18
	s_mov_b32 s1, 0xbff921fb
	s_mov_b32 s3, 0xbc91a626
	s_mov_b32 s2, 0x33145c00
	v_rndne_f64_e32 v[16:17], v[12:13]
	v_fma_f64 v[12:13], v[16:17], s[0:1], |v[0:1]|
	v_mul_f64 v[14:15], v[16:17], s[2:3]
	s_mov_b32 s0, 0x252049c0
	s_mov_b32 s1, 0xb97b839a
	v_cvt_i32_f64_e32 v34, v[16:17]
	v_fma_f64 v[26:27], v[16:17], s[2:3], v[12:13]
	v_add_f64 v[20:21], v[12:13], v[14:15]
	s_mov_b32 s3, 0x3c91a626
	v_add_f64 v[22:23], v[12:13], -v[20:21]
	v_add_f64 v[20:21], v[20:21], -v[26:27]
	v_add_f64 v[12:13], v[22:23], v[14:15]
	v_fma_f64 v[14:15], v[16:17], s[2:3], v[14:15]
	v_add_f64 v[12:13], v[20:21], v[12:13]
	v_add_f64 v[12:13], v[12:13], -v[14:15]
	v_fma_f64 v[14:15], v[16:17], s[0:1], v[12:13]
	v_add_f64 v[12:13], v[26:27], v[14:15]
	v_add_f64 v[20:21], v[12:13], -v[26:27]
	v_add_f64 v[14:15], v[14:15], -v[20:21]
.LBB0_10:
	v_mov_b32_e32 v11, v8
	s_and_b64 vcc, exec, s[6:7]
	v_mov_b32_e32 v10, v7
	s_cbranch_vccz .LBB0_12
; %bb.11:
	s_mov_b32 s0, 0
	s_mov_b32 s1, 0x7b000000
	s_movk_i32 s2, 0xff80
	v_ldexp_f64 v[16:17], |v[0:1]|, s2
	v_cmp_ge_f64_e64 vcc, |v[0:1]|, s[0:1]
	v_and_b32_e32 v6, 0x7fffffff, v1
	s_mov_b32 s0, 0
	s_mov_b32 s1, 0x7ff00000
	;; [unrolled: 1-line block ×3, first 2 shown]
	v_cndmask_b32_e32 v17, v6, v17, vcc
	v_cndmask_b32_e32 v16, v0, v16, vcc
	v_mul_f64 v[20:21], v[7:8], v[16:17]
	v_mul_f64 v[22:23], v[56:57], v[16:17]
	;; [unrolled: 1-line block ×3, first 2 shown]
	v_fma_f64 v[26:27], v[7:8], v[16:17], -v[20:21]
	v_fma_f64 v[39:40], v[56:57], v[16:17], -v[22:23]
	;; [unrolled: 1-line block ×3, first 2 shown]
	v_mov_b32_e32 v7, v10
	v_mov_b32_e32 v8, v11
	v_add_f64 v[28:29], v[22:23], v[26:27]
	v_add_f64 v[30:31], v[28:29], -v[22:23]
	v_add_f64 v[41:42], v[20:21], v[28:29]
	v_add_f64 v[35:36], v[28:29], -v[30:31]
	v_add_f64 v[26:27], v[26:27], -v[30:31]
	v_add_f64 v[30:31], v[37:38], v[39:40]
	v_add_f64 v[20:21], v[41:42], -v[20:21]
	v_add_f64 v[22:23], v[22:23], -v[35:36]
	v_ldexp_f64 v[35:36], v[41:42], -2
	v_add_f64 v[20:21], v[28:29], -v[20:21]
	v_add_f64 v[22:23], v[26:27], v[22:23]
	v_fract_f64_e32 v[26:27], v[35:36]
	v_cmp_neq_f64_e64 vcc, |v[35:36]|, s[0:1]
	v_add_f64 v[28:29], v[30:31], v[22:23]
	v_ldexp_f64 v[26:27], v[26:27], 2
	v_add_f64 v[35:36], v[20:21], v[28:29]
	v_cndmask_b32_e32 v27, 0, v27, vcc
	v_cndmask_b32_e32 v26, 0, v26, vcc
	v_add_f64 v[43:44], v[28:29], -v[30:31]
	v_add_f64 v[41:42], v[35:36], v[26:27]
	v_add_f64 v[20:21], v[35:36], -v[20:21]
	v_add_f64 v[47:48], v[28:29], -v[43:44]
	;; [unrolled: 1-line block ×3, first 2 shown]
	v_cmp_gt_f64_e32 vcc, 0, v[41:42]
	v_add_f64 v[41:42], v[30:31], -v[37:38]
	v_add_f64 v[20:21], v[28:29], -v[20:21]
	s_and_b64 s[0:1], vcc, exec
	s_cselect_b32 s3, 0x40100000, 0
	v_add_f64 v[26:27], v[26:27], s[2:3]
	v_add_f64 v[45:46], v[30:31], -v[41:42]
	v_add_f64 v[39:40], v[39:40], -v[41:42]
	;; [unrolled: 1-line block ×3, first 2 shown]
	v_add_f64 v[49:50], v[35:36], v[26:27]
	v_add_f64 v[41:42], v[37:38], -v[45:46]
	v_add_f64 v[22:23], v[22:23], v[30:31]
	v_cvt_i32_f64_e32 v6, v[49:50]
	v_add_f64 v[39:40], v[39:40], v[41:42]
	v_cvt_f64_i32_e32 v[43:44], v6
	v_add_f64 v[26:27], v[26:27], -v[43:44]
	v_add_f64 v[22:23], v[39:40], v[22:23]
	v_add_f64 v[30:31], v[35:36], v[26:27]
	;; [unrolled: 1-line block ×3, first 2 shown]
	v_add_f64 v[22:23], v[30:31], -v[26:27]
	v_cmp_le_f64_e32 vcc, 0.5, v[30:31]
	v_add_f64 v[16:17], v[20:21], v[16:17]
	v_add_f64 v[20:21], v[35:36], -v[22:23]
	s_and_b64 s[0:1], vcc, exec
	s_cselect_b32 s3, 0x3ff00000, 0
	v_addc_co_u32_e64 v33, s[0:1], 0, v6, vcc
	s_mov_b32 s0, 0x54442d18
	s_mov_b32 s1, 0x3ff921fb
	v_add_f64 v[16:17], v[16:17], v[20:21]
	v_add_f64 v[20:21], v[30:31], -s[2:3]
	s_mov_b32 s2, 0x33145c07
	s_mov_b32 s3, 0x3c91a626
	v_add_f64 v[22:23], v[20:21], v[16:17]
	v_mul_f64 v[26:27], v[22:23], s[0:1]
	v_add_f64 v[20:21], v[22:23], -v[20:21]
	v_fma_f64 v[28:29], v[22:23], s[0:1], -v[26:27]
	v_add_f64 v[16:17], v[16:17], -v[20:21]
	v_fma_f64 v[20:21], v[22:23], s[2:3], v[28:29]
	v_fma_f64 v[16:17], v[16:17], s[0:1], v[20:21]
	v_add_f64 v[22:23], v[26:27], v[16:17]
	v_add_f64 v[20:21], v[22:23], -v[26:27]
	v_add_f64 v[30:31], v[16:17], -v[20:21]
	s_cbranch_execz .LBB0_13
	s_branch .LBB0_14
.LBB0_12:
                                        ; implicit-def: $vgpr33
                                        ; implicit-def: $vgpr22_vgpr23
                                        ; implicit-def: $vgpr30_vgpr31
.LBB0_13:
	s_mov_b32 s0, 0x6dc9c883
	s_mov_b32 s1, 0x3fe45f30
	v_mul_f64 v[16:17], |v[0:1]|, s[0:1]
	s_mov_b32 s0, 0x54442d18
	s_mov_b32 s1, 0xbff921fb
	;; [unrolled: 1-line block ×4, first 2 shown]
	v_rndne_f64_e32 v[16:17], v[16:17]
	v_fma_f64 v[20:21], v[16:17], s[0:1], |v[0:1]|
	v_mul_f64 v[22:23], v[16:17], s[2:3]
	s_mov_b32 s0, 0x252049c0
	s_mov_b32 s1, 0xb97b839a
	v_cvt_i32_f64_e32 v33, v[16:17]
	v_add_f64 v[26:27], v[20:21], v[22:23]
	v_add_f64 v[28:29], v[20:21], -v[26:27]
	v_fma_f64 v[20:21], v[16:17], s[2:3], v[20:21]
	s_mov_b32 s3, 0x3c91a626
	v_add_f64 v[28:29], v[28:29], v[22:23]
	v_add_f64 v[26:27], v[26:27], -v[20:21]
	v_fma_f64 v[22:23], v[16:17], s[2:3], v[22:23]
	v_add_f64 v[26:27], v[26:27], v[28:29]
	v_add_f64 v[22:23], v[26:27], -v[22:23]
	v_fma_f64 v[26:27], v[16:17], s[0:1], v[22:23]
	v_add_f64 v[22:23], v[20:21], v[26:27]
	v_add_f64 v[20:21], v[22:23], -v[20:21]
	v_add_f64 v[30:31], v[26:27], -v[20:21]
.LBB0_14:
	s_and_b64 vcc, exec, s[6:7]
	s_cbranch_vccz .LBB0_16
; %bb.15:
	s_mov_b32 s0, 0
	s_mov_b32 s1, 0x7b000000
	s_movk_i32 s2, 0xff80
	v_ldexp_f64 v[16:17], |v[0:1]|, s2
	v_cmp_ge_f64_e64 vcc, |v[0:1]|, s[0:1]
	v_and_b32_e32 v6, 0x7fffffff, v1
	s_mov_b32 s0, 0
	s_mov_b32 s1, 0x7ff00000
	;; [unrolled: 1-line block ×3, first 2 shown]
	v_cndmask_b32_e32 v17, v6, v17, vcc
	v_cndmask_b32_e32 v16, v0, v16, vcc
	v_mul_f64 v[20:21], v[7:8], v[16:17]
	v_mul_f64 v[26:27], v[56:57], v[16:17]
	;; [unrolled: 1-line block ×3, first 2 shown]
	v_fma_f64 v[28:29], v[7:8], v[16:17], -v[20:21]
	v_fma_f64 v[43:44], v[56:57], v[16:17], -v[26:27]
	;; [unrolled: 1-line block ×3, first 2 shown]
	v_add_f64 v[35:36], v[26:27], v[28:29]
	v_add_f64 v[37:38], v[35:36], -v[26:27]
	v_add_f64 v[45:46], v[20:21], v[35:36]
	v_add_f64 v[39:40], v[35:36], -v[37:38]
	v_add_f64 v[28:29], v[28:29], -v[37:38]
	v_add_f64 v[37:38], v[41:42], v[43:44]
	v_add_f64 v[20:21], v[45:46], -v[20:21]
	v_add_f64 v[26:27], v[26:27], -v[39:40]
	v_ldexp_f64 v[39:40], v[45:46], -2
	v_add_f64 v[20:21], v[35:36], -v[20:21]
	v_add_f64 v[26:27], v[28:29], v[26:27]
	v_fract_f64_e32 v[28:29], v[39:40]
	v_cmp_neq_f64_e64 vcc, |v[39:40]|, s[0:1]
	v_add_f64 v[35:36], v[37:38], v[26:27]
	v_ldexp_f64 v[28:29], v[28:29], 2
	v_add_f64 v[39:40], v[20:21], v[35:36]
	v_cndmask_b32_e32 v29, 0, v29, vcc
	v_cndmask_b32_e32 v28, 0, v28, vcc
	v_add_f64 v[47:48], v[35:36], -v[37:38]
	v_add_f64 v[45:46], v[39:40], v[28:29]
	v_add_f64 v[20:21], v[39:40], -v[20:21]
	v_add_f64 v[51:52], v[35:36], -v[47:48]
	;; [unrolled: 1-line block ×3, first 2 shown]
	v_cmp_gt_f64_e32 vcc, 0, v[45:46]
	v_add_f64 v[45:46], v[37:38], -v[41:42]
	v_add_f64 v[20:21], v[35:36], -v[20:21]
	s_and_b64 s[0:1], vcc, exec
	s_cselect_b32 s3, 0x40100000, 0
	v_add_f64 v[28:29], v[28:29], s[2:3]
	v_add_f64 v[49:50], v[37:38], -v[45:46]
	v_add_f64 v[43:44], v[43:44], -v[45:46]
	;; [unrolled: 1-line block ×3, first 2 shown]
	v_add_f64 v[53:54], v[39:40], v[28:29]
	v_add_f64 v[45:46], v[41:42], -v[49:50]
	v_add_f64 v[26:27], v[26:27], v[37:38]
	v_cvt_i32_f64_e32 v6, v[53:54]
	v_add_f64 v[43:44], v[43:44], v[45:46]
	v_cvt_f64_i32_e32 v[47:48], v6
	v_add_f64 v[28:29], v[28:29], -v[47:48]
	v_add_f64 v[26:27], v[43:44], v[26:27]
	v_add_f64 v[37:38], v[39:40], v[28:29]
	;; [unrolled: 1-line block ×3, first 2 shown]
	v_add_f64 v[26:27], v[37:38], -v[28:29]
	v_cmp_le_f64_e32 vcc, 0.5, v[37:38]
	v_add_f64 v[16:17], v[20:21], v[16:17]
	v_add_f64 v[20:21], v[39:40], -v[26:27]
	s_and_b64 s[0:1], vcc, exec
	s_cselect_b32 s3, 0x3ff00000, 0
	v_addc_co_u32_e64 v35, s[0:1], 0, v6, vcc
	s_mov_b32 s0, 0x54442d18
	s_mov_b32 s1, 0x3ff921fb
	v_add_f64 v[16:17], v[16:17], v[20:21]
	v_add_f64 v[20:21], v[37:38], -s[2:3]
	s_mov_b32 s2, 0x33145c07
	s_mov_b32 s3, 0x3c91a626
	v_add_f64 v[26:27], v[20:21], v[16:17]
	v_mul_f64 v[28:29], v[26:27], s[0:1]
	v_add_f64 v[20:21], v[26:27], -v[20:21]
	v_fma_f64 v[36:37], v[26:27], s[0:1], -v[28:29]
	v_add_f64 v[16:17], v[16:17], -v[20:21]
	v_fma_f64 v[20:21], v[26:27], s[2:3], v[36:37]
	v_fma_f64 v[20:21], v[16:17], s[0:1], v[20:21]
	v_add_f64 v[16:17], v[28:29], v[20:21]
	v_add_f64 v[26:27], v[16:17], -v[28:29]
	v_add_f64 v[20:21], v[20:21], -v[26:27]
	s_cbranch_execz .LBB0_17
	s_branch .LBB0_18
.LBB0_16:
                                        ; implicit-def: $vgpr35
                                        ; implicit-def: $vgpr16_vgpr17
                                        ; implicit-def: $vgpr20_vgpr21
.LBB0_17:
	s_mov_b32 s0, 0x6dc9c883
	s_mov_b32 s1, 0x3fe45f30
	v_mul_f64 v[16:17], |v[0:1]|, s[0:1]
	s_mov_b32 s0, 0x54442d18
	s_mov_b32 s1, 0xbff921fb
	;; [unrolled: 1-line block ×4, first 2 shown]
	v_rndne_f64_e32 v[26:27], v[16:17]
	v_fma_f64 v[16:17], v[26:27], s[0:1], |v[0:1]|
	v_mul_f64 v[20:21], v[26:27], s[2:3]
	s_mov_b32 s0, 0x252049c0
	s_mov_b32 s1, 0xb97b839a
	v_fma_f64 v[37:38], v[26:27], s[2:3], v[16:17]
	v_add_f64 v[28:29], v[16:17], v[20:21]
	s_mov_b32 s3, 0x3c91a626
	v_add_f64 v[35:36], v[16:17], -v[28:29]
	v_add_f64 v[28:29], v[28:29], -v[37:38]
	v_add_f64 v[16:17], v[35:36], v[20:21]
	v_fma_f64 v[20:21], v[26:27], s[2:3], v[20:21]
	v_cvt_i32_f64_e32 v35, v[26:27]
	v_add_f64 v[16:17], v[28:29], v[16:17]
	v_add_f64 v[16:17], v[16:17], -v[20:21]
	v_fma_f64 v[20:21], v[26:27], s[0:1], v[16:17]
	v_add_f64 v[16:17], v[37:38], v[20:21]
	v_add_f64 v[28:29], v[16:17], -v[37:38]
	v_add_f64 v[20:21], v[20:21], -v[28:29]
.LBB0_18:
	v_mul_f64 v[36:37], v[22:23], v[22:23]
	s_mov_b32 s2, 0x9037ab78
	s_mov_b32 s3, 0x3e21eeb6
	;; [unrolled: 1-line block ×7, first 2 shown]
	v_mul_f64 v[26:27], v[36:37], -0.5
	s_mov_b32 s27, 0x3efa01a0
	s_mov_b32 s28, 0x16c16967
	;; [unrolled: 1-line block ×5, first 2 shown]
	v_mul_f64 v[40:41], v[36:37], v[36:37]
	s_mov_b32 s20, 0xf9a43bb8
	v_add_f64 v[38:39], v[26:27], 1.0
	s_mov_b32 s21, 0x3de5e0b2
	s_mov_b32 s16, 0x796cde01
	;; [unrolled: 1-line block ×7, first 2 shown]
	v_add_f64 v[28:29], -v[38:39], 1.0
	v_mul_f64 v[44:45], v[30:31], 0.5
	v_and_b32_e32 v7, 1, v33
	s_mov_b32 s18, 0
	v_cmp_eq_u32_e32 vcc, 0, v7
	s_brev_b32 s19, 8
	s_movk_i32 s0, 0x1f8
	v_cmp_class_f64_e64 s[0:1], v[0:1], s0
	v_add_f64 v[26:27], v[28:29], v[26:27]
	v_mov_b32_e32 v29, s3
	v_mov_b32_e32 v28, s2
	v_fma_f64 v[42:43], v[36:37], s[22:23], v[28:29]
	s_mov_b32 s2, 0xb42fdfa7
	s_mov_b32 s3, 0xbe5ae600
	v_lshlrev_b32_e32 v8, 30, v33
	v_and_b32_e32 v8, 0x80000000, v8
	v_fma_f64 v[26:27], v[22:23], -v[30:31], v[26:27]
	v_add_f64 v[4:5], v[4:5], 1.0
	v_add_f64 v[2:3], v[2:3], 1.0
	v_fma_f64 v[42:43], v[36:37], v[42:43], s[24:25]
	v_fma_f64 v[42:43], v[36:37], v[42:43], s[26:27]
	;; [unrolled: 1-line block ×5, first 2 shown]
	v_mul_f64 v[42:43], v[22:23], -v[36:37]
	v_add_f64 v[38:39], v[38:39], v[26:27]
	v_mov_b32_e32 v27, s3
	v_mov_b32_e32 v26, s2
	v_fma_f64 v[40:41], v[36:37], s[20:21], v[26:27]
	s_mov_b32 s3, 0xbfc55555
	s_mov_b32 s2, s30
	v_fma_f64 v[40:41], v[36:37], v[40:41], s[16:17]
	v_fma_f64 v[40:41], v[36:37], v[40:41], s[14:15]
	;; [unrolled: 1-line block ×4, first 2 shown]
	v_fma_f64 v[30:31], v[36:37], v[40:41], -v[30:31]
	v_mov_b32_e32 v36, 0x7ff80000
	v_fma_f64 v[30:31], v[42:43], s[2:3], v[30:31]
	v_add_f64 v[22:23], v[22:23], -v[30:31]
	v_mov_b32_e32 v30, 0
	v_mov_b32_e32 v31, 0x412e8480
	v_fma_f64 v[30:31], s[8:9], s[8:9], v[30:31]
	v_xor_b32_e32 v6, 0x80000000, v23
	v_cndmask_b32_e32 v7, v22, v38, vcc
	v_cndmask_b32_e32 v6, v6, v39, vcc
	v_cmp_gt_f64_e32 vcc, s[18:19], v[30:31]
	v_xor_b32_e32 v6, v6, v8
	v_cndmask_b32_e64 v23, v36, v6, s[0:1]
	v_and_b32_e32 v6, 1, v32
	v_lshlrev_b32_e32 v8, 30, v32
	v_cndmask_b32_e64 v22, 0, v7, s[0:1]
	v_xor_b32_e32 v8, v8, v1
	v_and_b32_e32 v8, 0x80000000, v8
	s_and_b64 s[34:35], vcc, exec
	s_cselect_b32 s33, 0x100, 0
	v_ldexp_f64 v[30:31], v[30:31], s33
	s_cselect_b32 s33, 0xffffff80, 0
	v_rsq_f64_e32 v[37:38], v[30:31]
	v_mul_f64 v[39:40], v[30:31], v[37:38]
	v_mul_f64 v[37:38], v[37:38], 0.5
	v_fma_f64 v[41:42], -v[37:38], v[39:40], 0.5
	v_fma_f64 v[39:40], v[39:40], v[41:42], v[39:40]
	v_fma_f64 v[37:38], v[37:38], v[41:42], v[37:38]
	v_fma_f64 v[43:44], -v[39:40], v[39:40], v[30:31]
	v_fma_f64 v[39:40], v[43:44], v[37:38], v[39:40]
	v_fma_f64 v[41:42], -v[39:40], v[39:40], v[30:31]
	v_fma_f64 v[37:38], v[41:42], v[37:38], v[39:40]
	v_ldexp_f64 v[38:39], v[37:38], s33
	v_mov_b32_e32 v37, 0x260
	v_cmp_class_f64_e32 vcc, v[30:31], v37
	v_cndmask_b32_e32 v31, v39, v31, vcc
	v_cndmask_b32_e32 v30, v38, v30, vcc
	v_mul_f64 v[38:39], v[18:19], v[18:19]
	v_cmp_eq_u32_e32 vcc, 0, v6
	v_mul_f64 v[40:41], v[38:39], -0.5
	v_fma_f64 v[46:47], v[38:39], s[22:23], v[28:29]
	v_add_f64 v[42:43], v[40:41], 1.0
	v_fma_f64 v[46:47], v[38:39], v[46:47], s[24:25]
	v_add_f64 v[44:45], -v[42:43], 1.0
	v_fma_f64 v[46:47], v[38:39], v[46:47], s[26:27]
	v_add_f64 v[40:41], v[44:45], v[40:41]
	v_fma_f64 v[46:47], v[38:39], v[46:47], s[28:29]
	v_mul_f64 v[44:45], v[38:39], v[38:39]
	v_fma_f64 v[40:41], v[18:19], -v[24:25], v[40:41]
	v_fma_f64 v[46:47], v[38:39], v[46:47], s[30:31]
	v_fma_f64 v[40:41], v[44:45], v[46:47], v[40:41]
	v_mul_f64 v[44:45], v[18:19], -v[38:39]
	v_mul_f64 v[46:47], v[24:25], 0.5
	v_add_f64 v[40:41], v[42:43], v[40:41]
	v_fma_f64 v[42:43], v[38:39], s[20:21], v[26:27]
	v_fma_f64 v[42:43], v[38:39], v[42:43], s[16:17]
	;; [unrolled: 1-line block ×5, first 2 shown]
	v_fma_f64 v[24:25], v[38:39], v[42:43], -v[24:25]
	v_fma_f64 v[24:25], v[44:45], s[2:3], v[24:25]
	v_add_f64 v[18:19], v[18:19], -v[24:25]
	v_cndmask_b32_e32 v6, v40, v18, vcc
	v_cndmask_b32_e64 v18, 0, v6, s[0:1]
	v_cvt_i32_f64_e32 v6, s[12:13]
	s_mov_b32 s12, 0
	s_mov_b32 s13, 0x405b8000
	v_cndmask_b32_e32 v7, v41, v19, vcc
	v_cvt_f64_i32_e32 v[24:25], v6
	v_xor_b32_e32 v7, v7, v8
	v_cndmask_b32_e64 v19, v36, v7, s[0:1]
	v_and_b32_e32 v6, 1, v34
	v_add_f64 v[24:25], v[24:25], 1.0
	v_div_scale_f64 v[32:33], s[34:35], v[24:25], v[24:25], s[12:13]
	v_rcp_f64_e32 v[38:39], v[32:33]
	v_fma_f64 v[40:41], -v[32:33], v[38:39], 1.0
	v_fma_f64 v[38:39], v[38:39], v[40:41], v[38:39]
	v_fma_f64 v[40:41], -v[32:33], v[38:39], 1.0
	v_fma_f64 v[38:39], v[38:39], v[40:41], v[38:39]
	v_div_scale_f64 v[40:41], vcc, s[12:13], v[24:25], s[12:13]
	v_mul_f64 v[42:43], v[40:41], v[38:39]
	v_fma_f64 v[32:33], -v[32:33], v[42:43], v[40:41]
	s_nop 1
	v_div_fmas_f64 v[32:33], v[32:33], v[38:39], v[42:43]
	v_cmp_eq_u32_e32 vcc, 0, v6
	v_lshlrev_b32_e32 v6, 30, v34
	v_and_b32_e32 v6, 0x80000000, v6
	v_div_fixup_f64 v[24:25], v[32:33], v[24:25], s[12:13]
	s_mov_b32 s12, 0
	s_mov_b32 s13, 0xc04b8000
	v_fma_f64 v[7:8], v[24:25], v[4:5], s[12:13]
	v_mul_f64 v[4:5], v[12:13], v[12:13]
	v_mul_f64 v[32:33], v[4:5], -0.5
	v_fma_f64 v[42:43], v[4:5], s[22:23], v[28:29]
	v_add_f64 v[38:39], v[32:33], 1.0
	v_fma_f64 v[42:43], v[4:5], v[42:43], s[24:25]
	v_add_f64 v[40:41], -v[38:39], 1.0
	v_fma_f64 v[42:43], v[4:5], v[42:43], s[26:27]
	v_add_f64 v[32:33], v[40:41], v[32:33]
	v_fma_f64 v[42:43], v[4:5], v[42:43], s[28:29]
	v_mul_f64 v[40:41], v[4:5], v[4:5]
	v_fma_f64 v[32:33], v[12:13], -v[14:15], v[32:33]
	v_fma_f64 v[42:43], v[4:5], v[42:43], s[30:31]
	v_fma_f64 v[32:33], v[40:41], v[42:43], v[32:33]
	v_mul_f64 v[40:41], v[12:13], -v[4:5]
	v_mul_f64 v[42:43], v[14:15], 0.5
	v_add_f64 v[32:33], v[38:39], v[32:33]
	v_fma_f64 v[38:39], v[4:5], s[20:21], v[26:27]
	v_fma_f64 v[38:39], v[4:5], v[38:39], s[16:17]
	;; [unrolled: 1-line block ×5, first 2 shown]
	v_fma_f64 v[4:5], v[4:5], v[38:39], -v[14:15]
	v_fma_f64 v[4:5], v[40:41], s[2:3], v[4:5]
	v_add_f64 v[4:5], v[12:13], -v[4:5]
	v_mul_f64 v[12:13], v[16:17], v[16:17]
	v_xor_b32_e32 v5, 0x80000000, v5
	v_cndmask_b32_e32 v5, v5, v33, vcc
	v_cndmask_b32_e32 v4, v4, v32, vcc
	v_xor_b32_e32 v5, v5, v6
	v_cndmask_b32_e64 v4, 0, v4, s[0:1]
	v_cndmask_b32_e64 v5, v36, v5, s[0:1]
	v_mul_f64 v[4:5], v[7:8], v[4:5]
	v_fma_f64 v[28:29], v[12:13], s[22:23], v[28:29]
	buffer_store_dword v7, off, s[96:99], 0 offset:80 ; 4-byte Folded Spill
	s_nop 0
	buffer_store_dword v8, off, s[96:99], 0 offset:84 ; 4-byte Folded Spill
	v_and_b32_e32 v6, 1, v35
	v_cmp_eq_u32_e32 vcc, 0, v6
	v_lshlrev_b32_e32 v6, 30, v35
	v_xor_b32_e32 v6, v6, v1
	v_and_b32_e32 v6, 0x80000000, v6
	v_fma_f64 v[4:5], v[30:31], v[18:19], -v[4:5]
	v_fma_f64 v[18:19], v[24:25], v[2:3], s[12:13]
	v_mul_f64 v[2:3], v[12:13], -0.5
	v_fma_f64 v[28:29], v[12:13], v[28:29], s[24:25]
	v_add_f64 v[14:15], v[2:3], 1.0
	v_fma_f64 v[28:29], v[12:13], v[28:29], s[26:27]
	v_add_f64 v[24:25], -v[14:15], 1.0
	v_fma_f64 v[28:29], v[12:13], v[28:29], s[28:29]
	v_add_f64 v[2:3], v[24:25], v[2:3]
	v_mul_f64 v[24:25], v[12:13], v[12:13]
	v_fma_f64 v[28:29], v[12:13], v[28:29], s[30:31]
	v_fma_f64 v[2:3], v[16:17], -v[20:21], v[2:3]
	v_fma_f64 v[2:3], v[24:25], v[28:29], v[2:3]
	v_mul_f64 v[24:25], v[16:17], -v[12:13]
	v_add_f64 v[2:3], v[14:15], v[2:3]
	v_fma_f64 v[14:15], v[12:13], s[20:21], v[26:27]
	v_mul_f64 v[26:27], v[20:21], 0.5
	v_fma_f64 v[14:15], v[12:13], v[14:15], s[16:17]
	v_fma_f64 v[14:15], v[12:13], v[14:15], s[14:15]
	;; [unrolled: 1-line block ×3, first 2 shown]
	s_mov_b32 s11, 0x3fedd9ad
	s_mov_b32 s10, 0x336a0500
	v_fma_f64 v[14:15], v[24:25], v[14:15], v[26:27]
	v_fma_f64 v[12:13], v[12:13], v[14:15], -v[20:21]
	v_fma_f64 v[12:13], v[24:25], s[2:3], v[12:13]
	s_mov_b32 s2, 0
	s_mov_b32 s3, 0x408f4000
	v_add_f64 v[12:13], v[16:17], -v[12:13]
	v_cndmask_b32_e32 v3, v3, v13, vcc
	v_cndmask_b32_e32 v2, v2, v12, vcc
	v_xor_b32_e32 v3, v3, v6
	v_cndmask_b32_e64 v2, 0, v2, s[0:1]
	v_cndmask_b32_e64 v3, v36, v3, s[0:1]
	v_mul_f64 v[2:3], v[7:8], v[2:3]
	v_add_f64 v[6:7], s[8:9], s[8:9]
	buffer_store_dword v6, off, s[96:99], 0 offset:520 ; 4-byte Folded Spill
	s_nop 0
	buffer_store_dword v7, off, s[96:99], 0 offset:524 ; 4-byte Folded Spill
	v_mul_f64 v[12:13], v[4:5], v[4:5]
	v_fma_f64 v[2:3], v[22:23], s[2:3], v[2:3]
	v_fma_f64 v[12:13], v[18:19], v[18:19], v[12:13]
	;; [unrolled: 1-line block ×3, first 2 shown]
	v_fma_f64 v[12:13], -s[8:9], s[8:9], v[12:13]
	v_mul_f64 v[14:15], v[12:13], v[12:13]
	v_mul_f64 v[16:17], v[6:7], v[2:3]
	v_mov_b32_e32 v6, 0x100
	v_fma_f64 v[14:15], v[16:17], v[16:17], v[14:15]
	v_cmp_gt_f64_e32 vcc, s[18:19], v[14:15]
	v_cndmask_b32_e32 v7, 0, v6, vcc
	v_ldexp_f64 v[14:15], v[14:15], v7
	v_mov_b32_e32 v7, 0xffffff80
	v_cndmask_b32_e32 v8, 0, v7, vcc
	v_rsq_f64_e32 v[16:17], v[14:15]
	v_cmp_class_f64_e32 vcc, v[14:15], v37
	v_mul_f64 v[20:21], v[14:15], v[16:17]
	v_mul_f64 v[16:17], v[16:17], 0.5
	v_fma_f64 v[22:23], -v[16:17], v[20:21], 0.5
	v_fma_f64 v[20:21], v[20:21], v[22:23], v[20:21]
	v_fma_f64 v[16:17], v[16:17], v[22:23], v[16:17]
	v_fma_f64 v[24:25], -v[20:21], v[20:21], v[14:15]
	v_fma_f64 v[20:21], v[24:25], v[16:17], v[20:21]
	v_fma_f64 v[22:23], -v[20:21], v[20:21], v[14:15]
	v_fma_f64 v[16:17], v[22:23], v[16:17], v[20:21]
	v_ldexp_f64 v[16:17], v[16:17], v8
	v_cndmask_b32_e32 v15, v17, v15, vcc
	v_cndmask_b32_e32 v14, v16, v14, vcc
	v_add_f64 v[12:13], v[12:13], v[14:15]
	v_mul_f64 v[12:13], v[12:13], 0.5
	v_cmp_gt_f64_e32 vcc, s[18:19], v[12:13]
	v_cndmask_b32_e32 v6, 0, v6, vcc
	v_ldexp_f64 v[12:13], v[12:13], v6
	v_cndmask_b32_e32 v6, 0, v7, vcc
	v_rsq_f64_e32 v[14:15], v[12:13]
	v_cmp_class_f64_e32 vcc, v[12:13], v37
	v_mul_f64 v[16:17], v[12:13], v[14:15]
	v_mul_f64 v[14:15], v[14:15], 0.5
	v_fma_f64 v[20:21], -v[14:15], v[16:17], 0.5
	v_fma_f64 v[16:17], v[16:17], v[20:21], v[16:17]
	v_fma_f64 v[14:15], v[14:15], v[20:21], v[14:15]
	v_fma_f64 v[22:23], -v[16:17], v[16:17], v[12:13]
	v_fma_f64 v[16:17], v[22:23], v[14:15], v[16:17]
	v_fma_f64 v[20:21], -v[16:17], v[16:17], v[12:13]
	v_fma_f64 v[14:15], v[20:21], v[14:15], v[16:17]
	v_ldexp_f64 v[14:15], v[14:15], v6
	v_cndmask_b32_e32 v7, v15, v13, vcc
	v_cndmask_b32_e32 v6, v14, v12, vcc
	v_div_scale_f64 v[12:13], s[2:3], v[6:7], v[6:7], v[2:3]
	s_mov_b32 s2, 0x9fea6a70
	s_mov_b32 s3, 0x3fa05985
	v_rcp_f64_e32 v[14:15], v[12:13]
	v_fma_f64 v[16:17], -v[12:13], v[14:15], 1.0
	v_fma_f64 v[14:15], v[14:15], v[16:17], v[14:15]
	v_fma_f64 v[16:17], -v[12:13], v[14:15], 1.0
	v_fma_f64 v[14:15], v[14:15], v[16:17], v[14:15]
	v_div_scale_f64 v[16:17], vcc, v[2:3], v[6:7], v[2:3]
	buffer_store_dword v6, off, s[96:99], 0 offset:32 ; 4-byte Folded Spill
	s_nop 0
	buffer_store_dword v7, off, s[96:99], 0 offset:36 ; 4-byte Folded Spill
	v_mul_f64 v[20:21], v[16:17], v[14:15]
	v_fma_f64 v[12:13], -v[12:13], v[20:21], v[16:17]
	v_mov_b32_e32 v16, 0x78a05eaf
	v_mov_b32_e32 v17, 0xbf90a5a3
	v_div_fmas_f64 v[12:13], v[12:13], v[14:15], v[20:21]
	v_div_fixup_f64 v[2:3], v[12:13], v[6:7], v[2:3]
	v_cmp_ge_f64_e64 vcc, |v[2:3]|, 0.5
	v_fma_f64 v[12:13], |v[2:3]|, -0.5, 0.5
	v_mul_f64 v[14:15], v[2:3], v[2:3]
	v_cndmask_b32_e32 v15, v15, v13, vcc
	v_cndmask_b32_e32 v14, v14, v12, vcc
	v_fma_f64 v[16:17], v[14:15], s[2:3], v[16:17]
	s_mov_b32 s2, 0x37024d6a
	s_mov_b32 s3, 0x3f940521
	v_fma_f64 v[16:17], v[14:15], v[16:17], s[2:3]
	s_mov_b32 s2, 0x98a70509
	s_mov_b32 s3, 0x3f7ab3a0
	;; [unrolled: 3-line block ×10, first 2 shown]
	v_fma_f64 v[16:17], v[14:15], v[16:17], s[2:3]
	v_mul_f64 v[16:17], v[14:15], v[16:17]
	v_mov_b32_e32 v14, 0xeeb562d6
	v_mov_b32_e32 v15, 0x3ffaf154
	v_fma_f64 v[20:21], v[2:3], v[16:17], v[2:3]
	v_fma_f64 v[8:9], s[10:11], v[14:15], -v[20:21]
	s_and_saveexec_b64 s[2:3], vcc
	s_cbranch_execz .LBB0_20
; %bb.19:
	v_rsq_f64_e32 v[20:21], v[12:13]
	v_cmp_eq_f64_e32 vcc, 0, v[12:13]
	s_mov_b32 s11, 0x3ffdd9ad
	v_mov_b32_e32 v6, 0x54442d18
	v_mov_b32_e32 v9, 0x400921fb
	v_mul_f64 v[22:23], v[12:13], v[20:21]
	v_mul_f64 v[20:21], v[20:21], 0.5
	v_fma_f64 v[24:25], -v[20:21], v[22:23], 0.5
	v_fma_f64 v[22:23], v[22:23], v[24:25], v[22:23]
	v_fma_f64 v[20:21], v[20:21], v[24:25], v[20:21]
	v_fma_f64 v[24:25], -v[22:23], v[22:23], v[12:13]
	v_fma_f64 v[20:21], v[24:25], v[20:21], v[22:23]
	v_cndmask_b32_e32 v21, v21, v13, vcc
	v_cndmask_b32_e32 v20, v20, v12, vcc
	v_add_f64 v[22:23], v[20:21], v[20:21]
	v_mul_f64 v[24:25], v[20:21], v[20:21]
	v_rcp_f64_e32 v[26:27], v[22:23]
	v_add_f64 v[28:29], v[12:13], -v[24:25]
	v_fma_f64 v[32:33], v[20:21], v[20:21], -v[24:25]
	v_add_f64 v[12:13], v[12:13], -v[28:29]
	v_fma_f64 v[30:31], -v[22:23], v[26:27], 1.0
	v_add_f64 v[12:13], v[12:13], -v[24:25]
	v_fma_f64 v[24:25], v[30:31], v[26:27], v[26:27]
	v_add_f64 v[12:13], v[12:13], -v[32:33]
	v_fma_f64 v[26:27], -v[22:23], v[24:25], 1.0
	v_add_f64 v[12:13], v[28:29], v[12:13]
	v_fma_f64 v[24:25], v[26:27], v[24:25], v[24:25]
	v_mul_f64 v[26:27], v[12:13], v[24:25]
	v_fma_f64 v[12:13], -v[22:23], v[26:27], v[12:13]
	v_fma_f64 v[12:13], v[12:13], v[24:25], v[26:27]
	v_cndmask_b32_e64 v13, v13, 0, vcc
	v_cndmask_b32_e64 v12, v12, 0, vcc
	v_add_f64 v[22:23], v[20:21], v[12:13]
	v_cmp_gt_f64_e32 vcc, 0, v[2:3]
	v_add_f64 v[20:21], v[22:23], -v[20:21]
	v_add_f64 v[12:13], v[12:13], -v[20:21]
	v_fma_f64 v[20:21], v[22:23], v[16:17], v[22:23]
	v_fma_f64 v[12:13], v[22:23], v[16:17], v[12:13]
	v_mul_f64 v[16:17], v[20:21], -2.0
	v_add_f64 v[12:13], v[22:23], v[12:13]
	v_fma_f64 v[14:15], s[10:11], v[14:15], v[16:17]
	v_add_f64 v[12:13], v[12:13], v[12:13]
	v_cndmask_b32_e32 v7, v13, v15, vcc
	v_cndmask_b32_e32 v8, v12, v14, vcc
	v_cmp_neq_f64_e32 vcc, -1.0, v[2:3]
	v_cndmask_b32_e32 v6, v6, v8, vcc
	v_cndmask_b32_e32 v7, v9, v7, vcc
	v_cmp_neq_f64_e32 vcc, 1.0, v[2:3]
	v_cndmask_b32_e32 v9, 0, v7, vcc
	v_cndmask_b32_e32 v8, 0, v6, vcc
.LBB0_20:
	s_or_b64 exec, exec, s[2:3]
	v_trig_preop_f64 v[50:51], |v[8:9]|, 0
	v_trig_preop_f64 v[32:33], |v[8:9]|, 1
	;; [unrolled: 1-line block ×3, first 2 shown]
	s_mov_b32 s2, 0
	s_mov_b32 s3, 0x41d00000
	v_cmp_nlt_f64_e64 s[10:11], |v[8:9]|, s[2:3]
                                        ; implicit-def: $vgpr2
                                        ; kill: killed $vgpr2
                                        ; implicit-def: $vgpr2_vgpr3
                                        ; kill: killed $vgpr2_vgpr3
                                        ; implicit-def: $vgpr2_vgpr3
                                        ; kill: killed $vgpr2_vgpr3
	s_mov_b64 s[2:3], exec
	s_and_b64 s[14:15], s[2:3], s[10:11]
	v_mov_b32_e32 v14, v32
	s_xor_b64 s[12:13], s[14:15], s[2:3]
	v_mov_b32_e32 v15, v33
	s_mov_b64 exec, s[14:15]
	s_cbranch_execz .LBB0_22
; %bb.21:
	s_mov_b32 s2, 0
	s_mov_b32 s3, 0x7b000000
	s_movk_i32 s14, 0xff80
	v_ldexp_f64 v[2:3], |v[8:9]|, s14
	v_cmp_ge_f64_e64 vcc, |v[8:9]|, s[2:3]
	v_and_b32_e32 v6, 0x7fffffff, v9
	s_mov_b32 s2, 0
	s_mov_b32 s3, 0x7ff00000
	v_mov_b32_e32 v38, 0
	v_mov_b32_e32 v7, 0x3ff00000
	s_mov_b32 s14, 0x33145c07
	s_mov_b32 s15, 0x3c91a626
	v_cndmask_b32_e32 v3, v6, v3, vcc
	v_cndmask_b32_e32 v2, v8, v2, vcc
	v_mul_f64 v[16:17], v[50:51], v[2:3]
	v_mul_f64 v[22:23], v[32:33], v[2:3]
	;; [unrolled: 1-line block ×3, first 2 shown]
	v_mov_b32_e32 v6, 0x40100000
	v_fma_f64 v[24:25], v[50:51], v[2:3], -v[16:17]
	v_fma_f64 v[34:35], v[14:15], v[2:3], -v[22:23]
	v_fma_f64 v[2:3], v[12:13], v[2:3], -v[32:33]
	v_add_f64 v[26:27], v[22:23], v[24:25]
	v_add_f64 v[28:29], v[26:27], -v[22:23]
	v_add_f64 v[36:37], v[16:17], v[26:27]
	v_add_f64 v[30:31], v[26:27], -v[28:29]
	v_add_f64 v[24:25], v[24:25], -v[28:29]
	v_add_f64 v[28:29], v[32:33], v[34:35]
	v_add_f64 v[16:17], v[36:37], -v[16:17]
	v_add_f64 v[22:23], v[22:23], -v[30:31]
	v_ldexp_f64 v[30:31], v[36:37], -2
	v_add_f64 v[40:41], v[28:29], -v[32:33]
	v_add_f64 v[16:17], v[26:27], -v[16:17]
	v_add_f64 v[22:23], v[24:25], v[22:23]
	v_fract_f64_e32 v[24:25], v[30:31]
	v_cmp_neq_f64_e64 vcc, |v[30:31]|, s[2:3]
	v_add_f64 v[34:35], v[34:35], -v[40:41]
	v_add_f64 v[26:27], v[28:29], v[22:23]
	v_ldexp_f64 v[24:25], v[24:25], 2
	v_add_f64 v[30:31], v[16:17], v[26:27]
	v_cndmask_b32_e32 v25, 0, v25, vcc
	v_cndmask_b32_e32 v24, 0, v24, vcc
	v_add_f64 v[42:43], v[26:27], -v[28:29]
	v_add_f64 v[36:37], v[30:31], v[24:25]
	v_add_f64 v[16:17], v[30:31], -v[16:17]
	v_add_f64 v[44:45], v[26:27], -v[42:43]
	;; [unrolled: 1-line block ×3, first 2 shown]
	v_cmp_gt_f64_e32 vcc, 0, v[36:37]
	v_add_f64 v[36:37], v[28:29], -v[40:41]
	v_add_f64 v[16:17], v[26:27], -v[16:17]
	v_add_f64 v[28:29], v[28:29], -v[44:45]
	v_cndmask_b32_e32 v39, 0, v6, vcc
	v_add_f64 v[24:25], v[24:25], v[38:39]
	v_add_f64 v[36:37], v[32:33], -v[36:37]
	v_add_f64 v[22:23], v[22:23], v[28:29]
	v_mov_b32_e32 v33, v15
	v_mov_b32_e32 v32, v14
	v_add_f64 v[46:47], v[30:31], v[24:25]
	v_add_f64 v[34:35], v[34:35], v[36:37]
	v_cvt_i32_f64_e32 v6, v[46:47]
	v_add_f64 v[22:23], v[34:35], v[22:23]
	v_cvt_f64_i32_e32 v[39:40], v6
	v_add_f64 v[24:25], v[24:25], -v[39:40]
	v_add_f64 v[2:3], v[2:3], v[22:23]
	v_add_f64 v[28:29], v[30:31], v[24:25]
	;; [unrolled: 1-line block ×3, first 2 shown]
	v_add_f64 v[22:23], v[28:29], -v[24:25]
	v_cmp_le_f64_e32 vcc, 0.5, v[28:29]
	v_add_f64 v[16:17], v[30:31], -v[22:23]
	v_cndmask_b32_e32 v39, 0, v7, vcc
	v_addc_co_u32_e64 v6, s[2:3], 0, v6, vcc
	s_mov_b32 s2, 0x54442d18
	s_mov_b32 s3, 0x3ff921fb
	buffer_store_dword v6, off, s[96:99], 0 offset:48 ; 4-byte Folded Spill
	v_add_f64 v[2:3], v[2:3], v[16:17]
	v_add_f64 v[16:17], v[28:29], -v[38:39]
	v_add_f64 v[22:23], v[16:17], v[2:3]
	v_mul_f64 v[24:25], v[22:23], s[2:3]
	v_add_f64 v[16:17], v[22:23], -v[16:17]
	v_fma_f64 v[26:27], v[22:23], s[2:3], -v[24:25]
	v_add_f64 v[2:3], v[2:3], -v[16:17]
	v_fma_f64 v[16:17], v[22:23], s[14:15], v[26:27]
	v_fma_f64 v[2:3], v[2:3], s[2:3], v[16:17]
	v_add_f64 v[6:7], v[24:25], v[2:3]
	buffer_store_dword v6, off, s[96:99], 0 offset:64 ; 4-byte Folded Spill
	s_nop 0
	buffer_store_dword v7, off, s[96:99], 0 offset:68 ; 4-byte Folded Spill
	v_add_f64 v[16:17], v[6:7], -v[24:25]
	v_add_f64 v[2:3], v[2:3], -v[16:17]
	buffer_store_dword v2, off, s[96:99], 0 offset:88 ; 4-byte Folded Spill
	s_nop 0
	buffer_store_dword v3, off, s[96:99], 0 offset:92 ; 4-byte Folded Spill
	s_andn2_saveexec_b64 s[2:3], s[12:13]
	s_cbranch_execz .LBB0_24
	s_branch .LBB0_23
.LBB0_22:
	s_andn2_saveexec_b64 s[2:3], s[12:13]
	s_cbranch_execz .LBB0_24
.LBB0_23:
	s_mov_b32 s12, 0x6dc9c883
	s_mov_b32 s13, 0x3fe45f30
	v_mul_f64 v[2:3], |v[8:9]|, s[12:13]
	s_mov_b32 s12, 0x54442d18
	s_mov_b32 s13, 0xbff921fb
	s_mov_b32 s15, 0xbc91a626
	s_mov_b32 s14, 0x33145c00
	v_rndne_f64_e32 v[2:3], v[2:3]
	v_fma_f64 v[16:17], v[2:3], s[12:13], |v[8:9]|
	v_mul_f64 v[22:23], v[2:3], s[14:15]
	s_mov_b32 s12, 0x252049c0
	s_mov_b32 s13, 0xb97b839a
	v_add_f64 v[24:25], v[16:17], v[22:23]
	v_add_f64 v[26:27], v[16:17], -v[24:25]
	v_fma_f64 v[16:17], v[2:3], s[14:15], v[16:17]
	s_mov_b32 s15, 0x3c91a626
	v_add_f64 v[26:27], v[26:27], v[22:23]
	v_add_f64 v[24:25], v[24:25], -v[16:17]
	v_fma_f64 v[22:23], v[2:3], s[14:15], v[22:23]
	v_add_f64 v[24:25], v[24:25], v[26:27]
	v_add_f64 v[22:23], v[24:25], -v[22:23]
	v_fma_f64 v[24:25], v[2:3], s[12:13], v[22:23]
	v_cvt_i32_f64_e32 v2, v[2:3]
	v_add_f64 v[6:7], v[16:17], v[24:25]
	buffer_store_dword v6, off, s[96:99], 0 offset:64 ; 4-byte Folded Spill
	s_nop 0
	buffer_store_dword v7, off, s[96:99], 0 offset:68 ; 4-byte Folded Spill
	v_add_f64 v[16:17], v[6:7], -v[16:17]
	v_add_f64 v[6:7], v[24:25], -v[16:17]
	buffer_store_dword v6, off, s[96:99], 0 offset:88 ; 4-byte Folded Spill
	s_nop 0
	buffer_store_dword v7, off, s[96:99], 0 offset:92 ; 4-byte Folded Spill
	buffer_store_dword v2, off, s[96:99], 0 offset:48 ; 4-byte Folded Spill
.LBB0_24:
	s_or_b64 exec, exec, s[2:3]
                                        ; implicit-def: $vgpr2
                                        ; kill: killed $vgpr2
                                        ; implicit-def: $vgpr2_vgpr3
                                        ; kill: killed $vgpr2_vgpr3
                                        ; implicit-def: $vgpr2_vgpr3
                                        ; kill: killed $vgpr2_vgpr3
	s_and_saveexec_b64 s[2:3], s[10:11]
	s_xor_b64 s[12:13], exec, s[2:3]
	s_cbranch_execz .LBB0_26
; %bb.25:
	s_mov_b32 s2, 0
	s_mov_b32 s3, 0x7b000000
	s_movk_i32 s14, 0xff80
	v_ldexp_f64 v[2:3], |v[8:9]|, s14
	v_cmp_ge_f64_e64 vcc, |v[8:9]|, s[2:3]
	v_and_b32_e32 v6, 0x7fffffff, v9
	s_mov_b32 s2, 0
	s_mov_b32 s3, 0x7ff00000
	v_mov_b32_e32 v40, 0
	v_mov_b32_e32 v7, 0x3ff00000
	s_mov_b32 s14, 0x33145c07
	s_mov_b32 s15, 0x3c91a626
	v_cndmask_b32_e32 v3, v6, v3, vcc
	v_cndmask_b32_e32 v2, v8, v2, vcc
	v_mul_f64 v[16:17], v[50:51], v[2:3]
	v_mul_f64 v[24:25], v[32:33], v[2:3]
	;; [unrolled: 1-line block ×3, first 2 shown]
	v_mov_b32_e32 v6, 0x40100000
	v_fma_f64 v[26:27], v[50:51], v[2:3], -v[16:17]
	v_fma_f64 v[36:37], v[14:15], v[2:3], -v[24:25]
	;; [unrolled: 1-line block ×3, first 2 shown]
	v_add_f64 v[28:29], v[24:25], v[26:27]
	v_add_f64 v[30:31], v[28:29], -v[24:25]
	v_add_f64 v[38:39], v[16:17], v[28:29]
	v_add_f64 v[32:33], v[28:29], -v[30:31]
	v_add_f64 v[26:27], v[26:27], -v[30:31]
	v_add_f64 v[30:31], v[34:35], v[36:37]
	v_add_f64 v[16:17], v[38:39], -v[16:17]
	v_add_f64 v[24:25], v[24:25], -v[32:33]
	v_ldexp_f64 v[32:33], v[38:39], -2
	v_add_f64 v[42:43], v[30:31], -v[34:35]
	v_add_f64 v[16:17], v[28:29], -v[16:17]
	v_add_f64 v[24:25], v[26:27], v[24:25]
	v_fract_f64_e32 v[26:27], v[32:33]
	v_cmp_neq_f64_e64 vcc, |v[32:33]|, s[2:3]
	v_add_f64 v[36:37], v[36:37], -v[42:43]
	v_add_f64 v[28:29], v[30:31], v[24:25]
	v_ldexp_f64 v[26:27], v[26:27], 2
	v_add_f64 v[32:33], v[16:17], v[28:29]
	v_cndmask_b32_e32 v27, 0, v27, vcc
	v_cndmask_b32_e32 v26, 0, v26, vcc
	v_add_f64 v[44:45], v[28:29], -v[30:31]
	v_add_f64 v[38:39], v[32:33], v[26:27]
	v_add_f64 v[16:17], v[32:33], -v[16:17]
	v_add_f64 v[46:47], v[28:29], -v[44:45]
	;; [unrolled: 1-line block ×3, first 2 shown]
	v_cmp_gt_f64_e32 vcc, 0, v[38:39]
	v_add_f64 v[38:39], v[30:31], -v[42:43]
	v_add_f64 v[16:17], v[28:29], -v[16:17]
	;; [unrolled: 1-line block ×3, first 2 shown]
	v_cndmask_b32_e32 v41, 0, v6, vcc
	v_add_f64 v[26:27], v[26:27], v[40:41]
	v_add_f64 v[38:39], v[34:35], -v[38:39]
	v_add_f64 v[24:25], v[24:25], v[30:31]
	v_add_f64 v[48:49], v[32:33], v[26:27]
	;; [unrolled: 1-line block ×3, first 2 shown]
	v_cvt_i32_f64_e32 v6, v[48:49]
	v_add_f64 v[24:25], v[36:37], v[24:25]
	v_cvt_f64_i32_e32 v[41:42], v6
	v_add_f64 v[26:27], v[26:27], -v[41:42]
	v_add_f64 v[2:3], v[2:3], v[24:25]
	v_add_f64 v[30:31], v[32:33], v[26:27]
	;; [unrolled: 1-line block ×3, first 2 shown]
	v_add_f64 v[24:25], v[30:31], -v[26:27]
	v_cmp_le_f64_e32 vcc, 0.5, v[30:31]
	v_add_f64 v[16:17], v[32:33], -v[24:25]
	v_cndmask_b32_e32 v41, 0, v7, vcc
	v_addc_co_u32_e64 v6, s[2:3], 0, v6, vcc
	s_mov_b32 s2, 0x54442d18
	s_mov_b32 s3, 0x3ff921fb
	buffer_store_dword v6, off, s[96:99], 0 offset:96 ; 4-byte Folded Spill
	v_mov_b32_e32 v33, v15
	v_add_f64 v[2:3], v[2:3], v[16:17]
	v_add_f64 v[16:17], v[30:31], -v[40:41]
	v_mov_b32_e32 v32, v14
	v_add_f64 v[24:25], v[16:17], v[2:3]
	v_mul_f64 v[26:27], v[24:25], s[2:3]
	v_add_f64 v[16:17], v[24:25], -v[16:17]
	v_fma_f64 v[28:29], v[24:25], s[2:3], -v[26:27]
	v_add_f64 v[2:3], v[2:3], -v[16:17]
	v_fma_f64 v[16:17], v[24:25], s[14:15], v[28:29]
	v_fma_f64 v[2:3], v[2:3], s[2:3], v[16:17]
	v_add_f64 v[6:7], v[26:27], v[2:3]
	buffer_store_dword v6, off, s[96:99], 0 offset:104 ; 4-byte Folded Spill
	s_nop 0
	buffer_store_dword v7, off, s[96:99], 0 offset:108 ; 4-byte Folded Spill
	v_add_f64 v[16:17], v[6:7], -v[26:27]
	v_add_f64 v[2:3], v[2:3], -v[16:17]
	buffer_store_dword v2, off, s[96:99], 0 offset:112 ; 4-byte Folded Spill
	s_nop 0
	buffer_store_dword v3, off, s[96:99], 0 offset:116 ; 4-byte Folded Spill
.LBB0_26:
	s_or_saveexec_b64 s[2:3], s[12:13]
	v_mov_b32_e32 v23, v11
	v_mov_b32_e32 v22, v10
	s_xor_b64 exec, exec, s[2:3]
	s_cbranch_execz .LBB0_28
; %bb.27:
	s_mov_b32 s12, 0x6dc9c883
	s_mov_b32 s13, 0x3fe45f30
	v_mul_f64 v[2:3], |v[8:9]|, s[12:13]
	s_mov_b32 s12, 0x54442d18
	s_mov_b32 s13, 0xbff921fb
	;; [unrolled: 1-line block ×4, first 2 shown]
	v_rndne_f64_e32 v[2:3], v[2:3]
	v_fma_f64 v[16:17], v[2:3], s[12:13], |v[8:9]|
	v_mul_f64 v[24:25], v[2:3], s[14:15]
	s_mov_b32 s12, 0x252049c0
	s_mov_b32 s13, 0xb97b839a
	v_add_f64 v[26:27], v[16:17], v[24:25]
	v_add_f64 v[28:29], v[16:17], -v[26:27]
	v_fma_f64 v[16:17], v[2:3], s[14:15], v[16:17]
	s_mov_b32 s15, 0x3c91a626
	v_add_f64 v[28:29], v[28:29], v[24:25]
	v_add_f64 v[26:27], v[26:27], -v[16:17]
	v_fma_f64 v[24:25], v[2:3], s[14:15], v[24:25]
	v_add_f64 v[26:27], v[26:27], v[28:29]
	v_add_f64 v[24:25], v[26:27], -v[24:25]
	v_fma_f64 v[24:25], v[2:3], s[12:13], v[24:25]
	v_cvt_i32_f64_e32 v2, v[2:3]
	v_add_f64 v[6:7], v[16:17], v[24:25]
	buffer_store_dword v6, off, s[96:99], 0 offset:104 ; 4-byte Folded Spill
	s_nop 0
	buffer_store_dword v7, off, s[96:99], 0 offset:108 ; 4-byte Folded Spill
	v_add_f64 v[16:17], v[6:7], -v[16:17]
	v_add_f64 v[6:7], v[24:25], -v[16:17]
	buffer_store_dword v6, off, s[96:99], 0 offset:112 ; 4-byte Folded Spill
	s_nop 0
	buffer_store_dword v7, off, s[96:99], 0 offset:116 ; 4-byte Folded Spill
	buffer_store_dword v2, off, s[96:99], 0 offset:96 ; 4-byte Folded Spill
.LBB0_28:
	s_or_b64 exec, exec, s[2:3]
	s_and_b64 vcc, exec, s[6:7]
	s_cbranch_vccz .LBB0_30
; %bb.29:
	s_mov_b32 s2, 0
	s_mov_b32 s3, 0x7b000000
	v_cmp_ge_f64_e64 vcc, |v[0:1]|, s[2:3]
	s_movk_i32 s2, 0xff80
	v_ldexp_f64 v[2:3], |v[0:1]|, s2
	v_and_b32_e32 v6, 0x7fffffff, v1
	s_mov_b32 s2, 0
	s_mov_b32 s3, 0x7ff00000
	;; [unrolled: 1-line block ×3, first 2 shown]
	v_cndmask_b32_e32 v17, v6, v3, vcc
	v_cndmask_b32_e32 v16, v0, v2, vcc
	v_mul_f64 v[26:27], v[22:23], v[16:17]
	v_mul_f64 v[2:3], v[56:57], v[16:17]
	;; [unrolled: 1-line block ×3, first 2 shown]
	v_fma_f64 v[30:31], v[22:23], v[16:17], -v[26:27]
	v_add_f64 v[32:33], v[2:3], v[30:31]
	v_add_f64 v[38:39], v[32:33], -v[2:3]
	v_add_f64 v[34:35], v[26:27], v[32:33]
	v_add_f64 v[30:31], v[30:31], -v[38:39]
	v_add_f64 v[38:39], v[32:33], -v[38:39]
	v_ldexp_f64 v[24:25], v[34:35], -2
	v_add_f64 v[38:39], v[2:3], -v[38:39]
	v_fract_f64_e32 v[36:37], v[24:25]
	v_cmp_neq_f64_e64 vcc, |v[24:25]|, s[2:3]
	v_add_f64 v[30:31], v[30:31], v[38:39]
	v_fma_f64 v[38:39], v[56:57], v[16:17], -v[2:3]
	v_add_f64 v[2:3], v[34:35], -v[26:27]
	v_fma_f64 v[16:17], v[60:61], v[16:17], -v[40:41]
	v_add_f64 v[42:43], v[40:41], v[38:39]
	v_add_f64 v[26:27], v[32:33], -v[2:3]
	v_add_f64 v[44:45], v[42:43], v[30:31]
	v_add_f64 v[32:33], v[44:45], -v[42:43]
	;; [unrolled: 2-line block ×3, first 2 shown]
	v_add_f64 v[32:33], v[44:45], -v[32:33]
	v_add_f64 v[26:27], v[2:3], -v[26:27]
	;; [unrolled: 1-line block ×4, first 2 shown]
	v_add_f64 v[30:31], v[30:31], v[32:33]
	v_add_f64 v[32:33], v[42:43], -v[40:41]
	v_add_f64 v[34:35], v[38:39], -v[32:33]
	;; [unrolled: 1-line block ×4, first 2 shown]
	v_add_f64 v[32:33], v[34:35], v[32:33]
	v_add_f64 v[30:31], v[32:33], v[30:31]
	v_mov_b32_e32 v33, v15
	v_mov_b32_e32 v32, v14
	v_add_f64 v[16:17], v[16:17], v[30:31]
	v_add_f64 v[16:17], v[26:27], v[16:17]
	v_ldexp_f64 v[26:27], v[36:37], 2
	v_cndmask_b32_e32 v25, 0, v27, vcc
	v_cndmask_b32_e32 v24, 0, v26, vcc
	v_add_f64 v[26:27], v[2:3], v[24:25]
	v_cmp_gt_f64_e32 vcc, 0, v[26:27]
	s_and_b64 s[2:3], vcc, exec
	s_cselect_b32 s13, 0x40100000, 0
	v_add_f64 v[24:25], v[24:25], s[12:13]
	v_add_f64 v[26:27], v[2:3], v[24:25]
	v_cvt_i32_f64_e32 v6, v[26:27]
	v_cvt_f64_i32_e32 v[26:27], v6
	v_add_f64 v[24:25], v[24:25], -v[26:27]
	v_add_f64 v[26:27], v[2:3], v[24:25]
	v_add_f64 v[24:25], v[26:27], -v[24:25]
	v_cmp_le_f64_e32 vcc, 0.5, v[26:27]
	v_add_f64 v[2:3], v[2:3], -v[24:25]
	s_and_b64 s[2:3], vcc, exec
	s_cselect_b32 s13, 0x3ff00000, 0
	v_addc_co_u32_e64 v6, s[2:3], 0, v6, vcc
	s_mov_b32 s2, 0x54442d18
	s_mov_b32 s3, 0x3ff921fb
	buffer_store_dword v6, off, s[96:99], 0 offset:120 ; 4-byte Folded Spill
	v_add_f64 v[2:3], v[16:17], v[2:3]
	v_add_f64 v[16:17], v[26:27], -s[12:13]
	s_mov_b32 s12, 0x33145c07
	s_mov_b32 s13, 0x3c91a626
	v_add_f64 v[24:25], v[16:17], v[2:3]
	v_add_f64 v[16:17], v[24:25], -v[16:17]
	v_add_f64 v[2:3], v[2:3], -v[16:17]
	v_mul_f64 v[16:17], v[24:25], s[2:3]
	v_fma_f64 v[26:27], v[24:25], s[2:3], -v[16:17]
	v_fma_f64 v[24:25], v[24:25], s[12:13], v[26:27]
	v_fma_f64 v[2:3], v[2:3], s[2:3], v[24:25]
	v_add_f64 v[6:7], v[16:17], v[2:3]
	buffer_store_dword v6, off, s[96:99], 0 offset:136 ; 4-byte Folded Spill
	s_nop 0
	buffer_store_dword v7, off, s[96:99], 0 offset:140 ; 4-byte Folded Spill
	v_add_f64 v[16:17], v[6:7], -v[16:17]
	v_add_f64 v[2:3], v[2:3], -v[16:17]
	buffer_store_dword v2, off, s[96:99], 0 offset:144 ; 4-byte Folded Spill
	s_nop 0
	buffer_store_dword v3, off, s[96:99], 0 offset:148 ; 4-byte Folded Spill
	buffer_store_dword v8, off, s[96:99], 0 offset:24 ; 4-byte Folded Spill
	s_nop 0
	buffer_store_dword v9, off, s[96:99], 0 offset:28 ; 4-byte Folded Spill
	s_cbranch_execz .LBB0_31
	s_branch .LBB0_32
.LBB0_30:
                                        ; implicit-def: $vgpr2
                                        ; kill: killed $vgpr2
                                        ; implicit-def: $vgpr2_vgpr3
                                        ; kill: killed $vgpr2_vgpr3
                                        ; implicit-def: $vgpr2_vgpr3
                                        ; kill: killed $vgpr2_vgpr3
	buffer_store_dword v8, off, s[96:99], 0 offset:24 ; 4-byte Folded Spill
	s_nop 0
	buffer_store_dword v9, off, s[96:99], 0 offset:28 ; 4-byte Folded Spill
.LBB0_31:
	s_mov_b32 s2, 0x6dc9c883
	s_mov_b32 s3, 0x3fe45f30
	v_mul_f64 v[2:3], |v[0:1]|, s[2:3]
	s_mov_b32 s2, 0x54442d18
	s_mov_b32 s3, 0xbff921fb
	;; [unrolled: 1-line block ×4, first 2 shown]
	v_rndne_f64_e32 v[2:3], v[2:3]
	v_fma_f64 v[16:17], v[2:3], s[2:3], |v[0:1]|
	v_mul_f64 v[24:25], v[2:3], s[12:13]
	s_mov_b32 s2, 0x252049c0
	s_mov_b32 s3, 0xb97b839a
	v_add_f64 v[26:27], v[16:17], v[24:25]
	v_add_f64 v[30:31], v[16:17], -v[26:27]
	v_fma_f64 v[16:17], v[2:3], s[12:13], v[16:17]
	s_mov_b32 s13, 0x3c91a626
	v_add_f64 v[30:31], v[30:31], v[24:25]
	v_add_f64 v[26:27], v[26:27], -v[16:17]
	v_fma_f64 v[24:25], v[2:3], s[12:13], v[24:25]
	v_add_f64 v[26:27], v[26:27], v[30:31]
	v_add_f64 v[24:25], v[26:27], -v[24:25]
	v_fma_f64 v[24:25], v[2:3], s[2:3], v[24:25]
	v_cvt_i32_f64_e32 v2, v[2:3]
	v_add_f64 v[6:7], v[16:17], v[24:25]
	buffer_store_dword v6, off, s[96:99], 0 offset:136 ; 4-byte Folded Spill
	s_nop 0
	buffer_store_dword v7, off, s[96:99], 0 offset:140 ; 4-byte Folded Spill
	v_add_f64 v[16:17], v[6:7], -v[16:17]
	v_add_f64 v[6:7], v[24:25], -v[16:17]
	buffer_store_dword v6, off, s[96:99], 0 offset:144 ; 4-byte Folded Spill
	s_nop 0
	buffer_store_dword v7, off, s[96:99], 0 offset:148 ; 4-byte Folded Spill
	buffer_store_dword v2, off, s[96:99], 0 offset:120 ; 4-byte Folded Spill
.LBB0_32:
	v_max_f64 v[2:3], |v[18:19]|, |v[18:19]|
	v_max_f64 v[16:17], |v[4:5]|, |v[4:5]|
	s_mov_b32 s14, 0x54442d18
	s_mov_b32 s15, 0x3ff921fb
	s_movk_i32 s16, 0x204
	v_cmp_class_f64_e64 s[12:13], v[18:19], s16
	v_cmp_class_f64_e64 s[16:17], v[4:5], s16
	v_mov_b32_e32 v6, 0x54442d18
	v_mov_b32_e32 v7, 0x7f3321d2
	v_max_f64 v[24:25], v[16:17], v[2:3]
	v_min_f64 v[2:3], v[16:17], v[2:3]
	v_mov_b32_e32 v8, 0x3fe921fb
	v_mov_b32_e32 v9, 0x4002d97c
	v_ashrrev_i32_e32 v10, 31, v5
	s_brev_b32 s18, -2
	v_mov_b32_e32 v11, 0x7ff80000
                                        ; implicit-def: $vgpr44_vgpr45
	v_div_scale_f64 v[16:17], s[2:3], v[24:25], v[24:25], v[2:3]
	s_mov_b32 s2, 0xb5e68a13
	s_mov_b32 s3, 0x3eeba404
	v_rcp_f64_e32 v[26:27], v[16:17]
	v_fma_f64 v[30:31], -v[16:17], v[26:27], 1.0
	v_fma_f64 v[26:27], v[26:27], v[30:31], v[26:27]
	v_div_scale_f64 v[30:31], vcc, v[2:3], v[24:25], v[2:3]
	v_fma_f64 v[34:35], -v[16:17], v[26:27], 1.0
	v_fma_f64 v[26:27], v[26:27], v[34:35], v[26:27]
	v_mul_f64 v[34:35], v[30:31], v[26:27]
	v_fma_f64 v[16:17], -v[16:17], v[34:35], v[30:31]
	v_div_fmas_f64 v[16:17], v[16:17], v[26:27], v[34:35]
	v_cmp_lt_f64_e64 vcc, |v[4:5]|, |v[18:19]|
	v_div_fixup_f64 v[2:3], v[16:17], v[24:25], v[2:3]
	v_mov_b32_e32 v24, 0xbd3237f4
	v_mov_b32_e32 v25, 0xbf23e260
	v_mul_f64 v[16:17], v[2:3], v[2:3]
	v_fma_f64 v[24:25], v[16:17], s[2:3], v[24:25]
	s_mov_b32 s2, 0x69efb384
	s_mov_b32 s3, 0x3f4b2bb0
	v_fma_f64 v[24:25], v[16:17], v[24:25], s[2:3]
	s_mov_b32 s2, 0xaf56de9b
	s_mov_b32 s3, 0xbf67952d
	v_fma_f64 v[24:25], v[16:17], v[24:25], s[2:3]
	s_mov_b32 s2, 0xa595c56f
	s_mov_b32 s3, 0x3f7d6d43
	v_fma_f64 v[24:25], v[16:17], v[24:25], s[2:3]
	s_mov_b32 s2, 0xa57d9582
	s_mov_b32 s3, 0xbf8c6ea4
	v_fma_f64 v[24:25], v[16:17], v[24:25], s[2:3]
	s_mov_b32 s2, 0x5f08b19f
	s_mov_b32 s3, 0x3f967e29
	v_fma_f64 v[24:25], v[16:17], v[24:25], s[2:3]
	s_mov_b32 s2, 0xfc27006a
	s_mov_b32 s3, 0xbf9e9ae6
	v_fma_f64 v[24:25], v[16:17], v[24:25], s[2:3]
	s_mov_b32 s2, 0x5711927a
	s_mov_b32 s3, 0x3fa2c15b
	v_fma_f64 v[24:25], v[16:17], v[24:25], s[2:3]
	s_mov_b32 s2, 0xe82d3ff0
	s_mov_b32 s3, 0xbfa59976
	v_fma_f64 v[24:25], v[16:17], v[24:25], s[2:3]
	s_mov_b32 s2, 0x6ef28734
	s_mov_b32 s3, 0x3fa82d5d
	v_fma_f64 v[24:25], v[16:17], v[24:25], s[2:3]
	s_mov_b32 s2, 0x6a214619
	s_mov_b32 s3, 0xbfaae5ce
	v_fma_f64 v[24:25], v[16:17], v[24:25], s[2:3]
	s_mov_b32 s2, 0x8427b883
	s_mov_b32 s3, 0x3fae1bb4
	v_fma_f64 v[24:25], v[16:17], v[24:25], s[2:3]
	s_mov_b32 s2, 0x8b207f05
	s_mov_b32 s3, 0xbfb110e4
	v_fma_f64 v[24:25], v[16:17], v[24:25], s[2:3]
	s_mov_b32 s2, 0x57b87036
	s_mov_b32 s3, 0x3fb3b136
	v_fma_f64 v[24:25], v[16:17], v[24:25], s[2:3]
	s_mov_b32 s2, 0x19378e4f
	s_mov_b32 s3, 0xbfb745d1
	v_fma_f64 v[24:25], v[16:17], v[24:25], s[2:3]
	s_mov_b32 s2, 0x17e1913c
	s_mov_b32 s3, 0x3fbc71c7
	v_fma_f64 v[24:25], v[16:17], v[24:25], s[2:3]
	s_mov_b32 s2, 0x92376b7d
	s_mov_b32 s3, 0xbfc24924
	v_fma_f64 v[24:25], v[16:17], v[24:25], s[2:3]
	s_mov_b32 s2, 0x999952cc
	s_mov_b32 s3, 0x3fc99999
	v_fma_f64 v[24:25], v[16:17], v[24:25], s[2:3]
	s_mov_b32 s2, 0x55555523
	s_mov_b32 s3, 0xbfd55555
	v_fma_f64 v[24:25], v[16:17], v[24:25], s[2:3]
	s_mov_b32 s3, 0x400921fb
	s_mov_b32 s2, s14
	v_mul_f64 v[16:17], v[16:17], v[24:25]
	v_fma_f64 v[2:3], v[2:3], v[16:17], v[2:3]
	v_add_f64 v[16:17], -v[2:3], s[14:15]
	v_cndmask_b32_e32 v3, v3, v17, vcc
	v_cndmask_b32_e32 v2, v2, v16, vcc
	v_add_f64 v[16:17], -v[2:3], s[2:3]
	v_cmp_eq_f64_e64 s[2:3], 0, v[18:19]
	v_cmp_gt_i32_e32 vcc, 0, v5
	v_cndmask_b32_e32 v6, v6, v7, vcc
	v_and_b32_e32 v7, 0x400921fb, v10
	v_cndmask_b32_e32 v8, v8, v9, vcc
	v_and_b32_e32 v9, 0x54442d18, v10
	v_bfi_b32 v8, s18, v8, v19
	v_cndmask_b32_e32 v3, v3, v17, vcc
	v_cndmask_b32_e32 v2, v2, v16, vcc
	v_cndmask_b32_e64 v3, v3, v7, s[2:3]
	v_cndmask_b32_e64 v2, v2, v9, s[2:3]
	s_and_b64 vcc, s[12:13], s[16:17]
	v_cndmask_b32_e32 v2, v2, v6, vcc
	v_cndmask_b32_e32 v3, v3, v8, vcc
	v_cmp_o_f64_e32 vcc, v[4:5], v[18:19]
	s_mov_b32 s2, 0
	s_mov_b32 s3, 0x41d00000
	v_cndmask_b32_e32 v3, v11, v3, vcc
	v_cndmask_b32_e32 v2, 0, v2, vcc
	v_trig_preop_f64 v[14:15], |v[2:3]|, 0
	v_trig_preop_f64 v[8:9], |v[2:3]|, 1
	;; [unrolled: 1-line block ×3, first 2 shown]
	buffer_store_dword v2, off, s[96:99], 0 offset:472 ; 4-byte Folded Spill
	s_nop 0
	buffer_store_dword v3, off, s[96:99], 0 offset:476 ; 4-byte Folded Spill
	v_cmp_nlt_f64_e64 s[12:13], |v[2:3]|, s[2:3]
                                        ; implicit-def: $vgpr2
                                        ; kill: killed $vgpr2
                                        ; implicit-def: $vgpr2_vgpr3
                                        ; kill: killed $vgpr2_vgpr3
	s_and_saveexec_b64 s[2:3], s[12:13]
	s_xor_b64 s[16:17], exec, s[2:3]
	s_cbranch_execz .LBB0_34
; %bb.33:
	buffer_load_dword v6, off, s[96:99], 0 offset:472 ; 4-byte Folded Reload
	buffer_load_dword v7, off, s[96:99], 0 offset:476 ; 4-byte Folded Reload
	s_mov_b32 s2, 0
	s_mov_b32 s3, 0x7b000000
	s_waitcnt vmcnt(0)
	v_cmp_ge_f64_e64 vcc, |v[6:7]|, s[2:3]
	s_movk_i32 s2, 0xff80
	v_ldexp_f64 v[2:3], |v[6:7]|, s2
	v_and_b32_e32 v4, 0x7fffffff, v7
	s_mov_b32 s2, 0
	s_mov_b32 s3, 0x7ff00000
	v_cndmask_b32_e32 v5, v4, v3, vcc
	v_cndmask_b32_e32 v4, v6, v2, vcc
	v_mul_f64 v[24:25], v[14:15], v[4:5]
	v_mul_f64 v[2:3], v[8:9], v[4:5]
	;; [unrolled: 1-line block ×3, first 2 shown]
	v_mov_b32_e32 v6, 0x40100000
	v_fma_f64 v[26:27], v[14:15], v[4:5], -v[24:25]
	v_add_f64 v[30:31], v[2:3], v[26:27]
	v_add_f64 v[38:39], v[30:31], -v[2:3]
	v_add_f64 v[34:35], v[24:25], v[30:31]
	v_add_f64 v[26:27], v[26:27], -v[38:39]
	v_add_f64 v[38:39], v[30:31], -v[38:39]
	v_ldexp_f64 v[16:17], v[34:35], -2
	v_add_f64 v[38:39], v[2:3], -v[38:39]
	v_fract_f64_e32 v[36:37], v[16:17]
	v_cmp_neq_f64_e64 vcc, |v[16:17]|, s[2:3]
	v_add_f64 v[26:27], v[26:27], v[38:39]
	v_fma_f64 v[38:39], v[8:9], v[4:5], -v[2:3]
	v_add_f64 v[2:3], v[34:35], -v[24:25]
	v_fma_f64 v[4:5], v[46:47], v[4:5], -v[40:41]
	v_add_f64 v[42:43], v[40:41], v[38:39]
	v_add_f64 v[24:25], v[30:31], -v[2:3]
	v_add_f64 v[44:45], v[42:43], v[26:27]
	v_add_f64 v[30:31], v[44:45], -v[42:43]
	;; [unrolled: 2-line block ×3, first 2 shown]
	v_add_f64 v[30:31], v[44:45], -v[30:31]
	v_add_f64 v[24:25], v[2:3], -v[24:25]
	;; [unrolled: 1-line block ×4, first 2 shown]
	v_add_f64 v[26:27], v[26:27], v[30:31]
	v_add_f64 v[30:31], v[42:43], -v[40:41]
	v_add_f64 v[34:35], v[38:39], -v[30:31]
	;; [unrolled: 1-line block ×4, first 2 shown]
	v_add_f64 v[30:31], v[34:35], v[30:31]
	v_add_f64 v[26:27], v[30:31], v[26:27]
	;; [unrolled: 1-line block ×4, first 2 shown]
	v_ldexp_f64 v[24:25], v[36:37], 2
	v_cndmask_b32_e32 v17, 0, v25, vcc
	v_cndmask_b32_e32 v16, 0, v24, vcc
	v_add_f64 v[24:25], v[2:3], v[16:17]
	v_cmp_gt_f64_e32 vcc, 0, v[24:25]
	v_mov_b32_e32 v24, 0
	v_cndmask_b32_e32 v25, 0, v6, vcc
	v_add_f64 v[16:17], v[16:17], v[24:25]
	v_add_f64 v[25:26], v[2:3], v[16:17]
	v_cvt_i32_f64_e32 v6, v[25:26]
	v_cvt_f64_i32_e32 v[25:26], v6
	v_add_f64 v[16:17], v[16:17], -v[25:26]
	v_add_f64 v[26:27], v[2:3], v[16:17]
	v_add_f64 v[16:17], v[26:27], -v[16:17]
	v_cmp_le_f64_e32 vcc, 0.5, v[26:27]
	v_add_f64 v[2:3], v[2:3], -v[16:17]
	v_add_f64 v[2:3], v[4:5], v[2:3]
	v_addc_co_u32_e64 v4, s[2:3], 0, v6, vcc
	buffer_store_dword v4, off, s[96:99], 0 offset:176 ; 4-byte Folded Spill
	v_mov_b32_e32 v4, 0x3ff00000
	v_cndmask_b32_e32 v25, 0, v4, vcc
	v_add_f64 v[4:5], v[26:27], -v[24:25]
	s_mov_b32 s2, 0x33145c07
	s_mov_b32 s3, 0x3c91a626
	v_add_f64 v[16:17], v[4:5], v[2:3]
	v_add_f64 v[4:5], v[16:17], -v[4:5]
	v_add_f64 v[2:3], v[2:3], -v[4:5]
	v_mul_f64 v[4:5], v[16:17], s[14:15]
	v_fma_f64 v[24:25], v[16:17], s[14:15], -v[4:5]
	v_fma_f64 v[16:17], v[16:17], s[2:3], v[24:25]
	v_fma_f64 v[2:3], v[2:3], s[14:15], v[16:17]
	v_add_f64 v[44:45], v[4:5], v[2:3]
	v_add_f64 v[4:5], v[44:45], -v[4:5]
	v_add_f64 v[2:3], v[2:3], -v[4:5]
	buffer_store_dword v2, off, s[96:99], 0 offset:192 ; 4-byte Folded Spill
	s_nop 0
	buffer_store_dword v3, off, s[96:99], 0 offset:196 ; 4-byte Folded Spill
.LBB0_34:
	s_andn2_saveexec_b64 s[2:3], s[16:17]
	s_cbranch_execz .LBB0_36
; %bb.35:
	buffer_load_dword v4, off, s[96:99], 0 offset:472 ; 4-byte Folded Reload
	buffer_load_dword v5, off, s[96:99], 0 offset:476 ; 4-byte Folded Reload
	s_mov_b32 s14, 0x6dc9c883
	s_mov_b32 s15, 0x3fe45f30
	;; [unrolled: 1-line block ×4, first 2 shown]
	s_waitcnt vmcnt(0)
	v_mul_f64 v[2:3], |v[4:5]|, s[14:15]
	s_mov_b32 s14, 0x54442d18
	s_mov_b32 s15, 0xbff921fb
	v_rndne_f64_e32 v[2:3], v[2:3]
	v_fma_f64 v[4:5], v[2:3], s[14:15], |v[4:5]|
	v_mul_f64 v[16:17], v[2:3], s[16:17]
	s_mov_b32 s14, 0x252049c0
	s_mov_b32 s15, 0xb97b839a
	v_add_f64 v[24:25], v[4:5], v[16:17]
	v_add_f64 v[26:27], v[4:5], -v[24:25]
	v_fma_f64 v[4:5], v[2:3], s[16:17], v[4:5]
	s_mov_b32 s17, 0x3c91a626
	v_add_f64 v[26:27], v[26:27], v[16:17]
	v_add_f64 v[24:25], v[24:25], -v[4:5]
	v_fma_f64 v[16:17], v[2:3], s[16:17], v[16:17]
	v_add_f64 v[24:25], v[24:25], v[26:27]
	v_add_f64 v[16:17], v[24:25], -v[16:17]
	v_fma_f64 v[16:17], v[2:3], s[14:15], v[16:17]
	v_cvt_i32_f64_e32 v2, v[2:3]
	v_add_f64 v[44:45], v[4:5], v[16:17]
	v_add_f64 v[4:5], v[44:45], -v[4:5]
	v_add_f64 v[4:5], v[16:17], -v[4:5]
	buffer_store_dword v4, off, s[96:99], 0 offset:192 ; 4-byte Folded Spill
	s_nop 0
	buffer_store_dword v5, off, s[96:99], 0 offset:196 ; 4-byte Folded Spill
	buffer_store_dword v2, off, s[96:99], 0 offset:176 ; 4-byte Folded Spill
.LBB0_36:
	s_or_b64 exec, exec, s[2:3]
	buffer_load_dword v10, off, s[96:99], 0 offset:24 ; 4-byte Folded Reload
	buffer_load_dword v11, off, s[96:99], 0 offset:28 ; 4-byte Folded Reload
	s_and_b64 vcc, exec, s[6:7]
	buffer_store_dword v8, off, s[96:99], 0 offset:40 ; 4-byte Folded Spill
	s_nop 0
	buffer_store_dword v9, off, s[96:99], 0 offset:44 ; 4-byte Folded Spill
	buffer_store_dword v14, off, s[96:99], 0 offset:56 ; 4-byte Folded Spill
	s_nop 0
	buffer_store_dword v15, off, s[96:99], 0 offset:60 ; 4-byte Folded Spill
	s_cbranch_vccz .LBB0_38
; %bb.37:
	s_mov_b32 s2, 0
	s_mov_b32 s3, 0x7b000000
	v_cmp_ge_f64_e64 vcc, |v[0:1]|, s[2:3]
	s_movk_i32 s2, 0xff80
	v_ldexp_f64 v[2:3], |v[0:1]|, s2
	v_and_b32_e32 v4, 0x7fffffff, v1
	s_mov_b32 s2, 0
	s_mov_b32 s3, 0x7ff00000
	;; [unrolled: 1-line block ×3, first 2 shown]
	v_cndmask_b32_e32 v5, v4, v3, vcc
	v_cndmask_b32_e32 v4, v0, v2, vcc
	v_mul_f64 v[24:25], v[22:23], v[4:5]
	v_mul_f64 v[2:3], v[56:57], v[4:5]
	v_mul_f64 v[40:41], v[60:61], v[4:5]
	v_fma_f64 v[26:27], v[22:23], v[4:5], -v[24:25]
	v_add_f64 v[30:31], v[2:3], v[26:27]
	v_add_f64 v[38:39], v[30:31], -v[2:3]
	v_add_f64 v[34:35], v[24:25], v[30:31]
	v_add_f64 v[26:27], v[26:27], -v[38:39]
	v_add_f64 v[38:39], v[30:31], -v[38:39]
	v_ldexp_f64 v[16:17], v[34:35], -2
	v_add_f64 v[38:39], v[2:3], -v[38:39]
	v_fract_f64_e32 v[36:37], v[16:17]
	v_cmp_neq_f64_e64 vcc, |v[16:17]|, s[2:3]
	v_add_f64 v[26:27], v[26:27], v[38:39]
	v_fma_f64 v[38:39], v[56:57], v[4:5], -v[2:3]
	v_add_f64 v[2:3], v[34:35], -v[24:25]
	v_fma_f64 v[4:5], v[60:61], v[4:5], -v[40:41]
	v_add_f64 v[42:43], v[40:41], v[38:39]
	v_add_f64 v[24:25], v[30:31], -v[2:3]
	v_add_f64 v[48:49], v[42:43], v[26:27]
	v_add_f64 v[30:31], v[48:49], -v[42:43]
	;; [unrolled: 2-line block ×3, first 2 shown]
	v_add_f64 v[30:31], v[48:49], -v[30:31]
	v_add_f64 v[24:25], v[2:3], -v[24:25]
	;; [unrolled: 1-line block ×4, first 2 shown]
	v_add_f64 v[26:27], v[26:27], v[30:31]
	v_add_f64 v[30:31], v[42:43], -v[40:41]
	v_add_f64 v[34:35], v[38:39], -v[30:31]
	;; [unrolled: 1-line block ×4, first 2 shown]
	v_add_f64 v[30:31], v[34:35], v[30:31]
	v_add_f64 v[26:27], v[30:31], v[26:27]
	;; [unrolled: 1-line block ×4, first 2 shown]
	v_ldexp_f64 v[24:25], v[36:37], 2
	v_cndmask_b32_e32 v17, 0, v25, vcc
	v_cndmask_b32_e32 v16, 0, v24, vcc
	v_add_f64 v[24:25], v[2:3], v[16:17]
	v_cmp_gt_f64_e32 vcc, 0, v[24:25]
	s_and_b64 s[2:3], vcc, exec
	s_cselect_b32 s15, 0x40100000, 0
	v_add_f64 v[16:17], v[16:17], s[14:15]
	v_add_f64 v[24:25], v[2:3], v[16:17]
	v_cvt_i32_f64_e32 v6, v[24:25]
	v_cvt_f64_i32_e32 v[24:25], v6
	v_add_f64 v[16:17], v[16:17], -v[24:25]
	v_add_f64 v[24:25], v[2:3], v[16:17]
	v_add_f64 v[16:17], v[24:25], -v[16:17]
	v_cmp_le_f64_e32 vcc, 0.5, v[24:25]
	v_add_f64 v[2:3], v[2:3], -v[16:17]
	s_and_b64 s[2:3], vcc, exec
	s_cselect_b32 s15, 0x3ff00000, 0
	v_add_f64 v[2:3], v[4:5], v[2:3]
	v_addc_co_u32_e64 v4, s[2:3], 0, v6, vcc
	buffer_store_dword v4, off, s[96:99], 0 offset:128 ; 4-byte Folded Spill
	v_add_f64 v[4:5], v[24:25], -s[14:15]
	s_mov_b32 s2, 0x54442d18
	s_mov_b32 s3, 0x3ff921fb
	;; [unrolled: 1-line block ×4, first 2 shown]
	v_add_f64 v[16:17], v[4:5], v[2:3]
	v_add_f64 v[4:5], v[16:17], -v[4:5]
	v_add_f64 v[2:3], v[2:3], -v[4:5]
	v_mul_f64 v[4:5], v[16:17], s[2:3]
	v_fma_f64 v[24:25], v[16:17], s[2:3], -v[4:5]
	v_fma_f64 v[16:17], v[16:17], s[14:15], v[24:25]
	v_fma_f64 v[2:3], v[2:3], s[2:3], v[16:17]
	v_add_f64 v[36:37], v[4:5], v[2:3]
	v_add_f64 v[4:5], v[36:37], -v[4:5]
	v_add_f64 v[2:3], v[2:3], -v[4:5]
	buffer_store_dword v2, off, s[96:99], 0 offset:152 ; 4-byte Folded Spill
	s_nop 0
	buffer_store_dword v3, off, s[96:99], 0 offset:156 ; 4-byte Folded Spill
	s_cbranch_execz .LBB0_39
	s_branch .LBB0_40
.LBB0_38:
                                        ; implicit-def: $vgpr2
                                        ; kill: killed $vgpr2
                                        ; implicit-def: $vgpr36_vgpr37
                                        ; implicit-def: $vgpr2_vgpr3
                                        ; kill: killed $vgpr2_vgpr3
.LBB0_39:
	s_mov_b32 s2, 0x6dc9c883
	s_mov_b32 s3, 0x3fe45f30
	v_mul_f64 v[2:3], |v[0:1]|, s[2:3]
	s_mov_b32 s2, 0x54442d18
	s_mov_b32 s3, 0xbff921fb
	;; [unrolled: 1-line block ×4, first 2 shown]
	v_rndne_f64_e32 v[2:3], v[2:3]
	v_fma_f64 v[4:5], v[2:3], s[2:3], |v[0:1]|
	v_mul_f64 v[16:17], v[2:3], s[14:15]
	s_mov_b32 s2, 0x252049c0
	s_mov_b32 s3, 0xb97b839a
	v_add_f64 v[24:25], v[4:5], v[16:17]
	v_add_f64 v[26:27], v[4:5], -v[24:25]
	v_fma_f64 v[4:5], v[2:3], s[14:15], v[4:5]
	s_mov_b32 s15, 0x3c91a626
	v_add_f64 v[26:27], v[26:27], v[16:17]
	v_add_f64 v[24:25], v[24:25], -v[4:5]
	v_fma_f64 v[16:17], v[2:3], s[14:15], v[16:17]
	v_add_f64 v[24:25], v[24:25], v[26:27]
	v_add_f64 v[16:17], v[24:25], -v[16:17]
	v_fma_f64 v[16:17], v[2:3], s[2:3], v[16:17]
	v_cvt_i32_f64_e32 v2, v[2:3]
	v_add_f64 v[36:37], v[4:5], v[16:17]
	v_add_f64 v[4:5], v[36:37], -v[4:5]
	v_add_f64 v[4:5], v[16:17], -v[4:5]
	buffer_store_dword v4, off, s[96:99], 0 offset:152 ; 4-byte Folded Spill
	s_nop 0
	buffer_store_dword v5, off, s[96:99], 0 offset:156 ; 4-byte Folded Spill
	buffer_store_dword v2, off, s[96:99], 0 offset:128 ; 4-byte Folded Spill
.LBB0_40:
                                        ; implicit-def: $vgpr2
                                        ; kill: killed $vgpr2
                                        ; implicit-def: $vgpr40_vgpr41
                                        ; implicit-def: $vgpr2_vgpr3
                                        ; kill: killed $vgpr2_vgpr3
	s_mov_b64 s[2:3], exec
	s_and_b64 s[16:17], s[2:3], s[10:11]
	s_xor_b64 s[14:15], s[16:17], s[2:3]
	buffer_store_dword v50, off, s[96:99], 0 offset:8 ; 4-byte Folded Spill
	s_nop 0
	buffer_store_dword v51, off, s[96:99], 0 offset:12 ; 4-byte Folded Spill
	s_mov_b64 exec, s[16:17]
	s_cbranch_execz .LBB0_42
; %bb.41:
	s_mov_b32 s2, 0
	s_mov_b32 s3, 0x7b000000
	s_waitcnt vmcnt(6)
	v_cmp_ge_f64_e64 vcc, |v[10:11]|, s[2:3]
	s_movk_i32 s2, 0xff80
	v_ldexp_f64 v[2:3], |v[10:11]|, s2
	v_and_b32_e32 v4, 0x7fffffff, v11
	s_mov_b32 s2, 0
	s_mov_b32 s3, 0x7ff00000
	v_mov_b32_e32 v6, 0x40100000
	s_mov_b32 s16, 0x33145c07
	s_mov_b32 s17, 0x3c91a626
	v_cndmask_b32_e32 v5, v4, v3, vcc
	v_cndmask_b32_e32 v4, v10, v2, vcc
	v_mul_f64 v[24:25], v[50:51], v[4:5]
	v_mul_f64 v[2:3], v[32:33], v[4:5]
	;; [unrolled: 1-line block ×3, first 2 shown]
	v_fma_f64 v[26:27], v[50:51], v[4:5], -v[24:25]
	v_add_f64 v[30:31], v[2:3], v[26:27]
	v_add_f64 v[40:41], v[30:31], -v[2:3]
	v_add_f64 v[34:35], v[24:25], v[30:31]
	v_add_f64 v[26:27], v[26:27], -v[40:41]
	v_add_f64 v[40:41], v[30:31], -v[40:41]
	v_ldexp_f64 v[16:17], v[34:35], -2
	v_add_f64 v[40:41], v[2:3], -v[40:41]
	v_fract_f64_e32 v[38:39], v[16:17]
	v_cmp_neq_f64_e64 vcc, |v[16:17]|, s[2:3]
	v_add_f64 v[26:27], v[26:27], v[40:41]
	v_fma_f64 v[40:41], v[32:33], v[4:5], -v[2:3]
	v_add_f64 v[2:3], v[34:35], -v[24:25]
	v_fma_f64 v[4:5], v[12:13], v[4:5], -v[42:43]
	v_add_f64 v[48:49], v[42:43], v[40:41]
	v_add_f64 v[24:25], v[30:31], -v[2:3]
	v_add_f64 v[50:51], v[48:49], v[26:27]
	v_add_f64 v[30:31], v[50:51], -v[48:49]
	;; [unrolled: 2-line block ×3, first 2 shown]
	v_add_f64 v[30:31], v[50:51], -v[30:31]
	v_add_f64 v[24:25], v[2:3], -v[24:25]
	;; [unrolled: 1-line block ×4, first 2 shown]
	buffer_load_dword v50, off, s[96:99], 0 offset:8 ; 4-byte Folded Reload
	buffer_load_dword v51, off, s[96:99], 0 offset:12 ; 4-byte Folded Reload
	v_add_f64 v[26:27], v[26:27], v[30:31]
	v_add_f64 v[30:31], v[48:49], -v[42:43]
	v_add_f64 v[34:35], v[40:41], -v[30:31]
	;; [unrolled: 1-line block ×4, first 2 shown]
	v_add_f64 v[30:31], v[34:35], v[30:31]
	v_add_f64 v[26:27], v[30:31], v[26:27]
	;; [unrolled: 1-line block ×4, first 2 shown]
	v_ldexp_f64 v[24:25], v[38:39], 2
	v_cndmask_b32_e32 v17, 0, v25, vcc
	v_cndmask_b32_e32 v16, 0, v24, vcc
	v_add_f64 v[24:25], v[2:3], v[16:17]
	v_cmp_gt_f64_e32 vcc, 0, v[24:25]
	v_mov_b32_e32 v24, 0
	v_cndmask_b32_e32 v25, 0, v6, vcc
	v_add_f64 v[16:17], v[16:17], v[24:25]
	v_add_f64 v[25:26], v[2:3], v[16:17]
	v_cvt_i32_f64_e32 v6, v[25:26]
	v_cvt_f64_i32_e32 v[25:26], v6
	v_add_f64 v[16:17], v[16:17], -v[25:26]
	v_add_f64 v[26:27], v[2:3], v[16:17]
	v_add_f64 v[16:17], v[26:27], -v[16:17]
	v_cmp_le_f64_e32 vcc, 0.5, v[26:27]
	v_add_f64 v[2:3], v[2:3], -v[16:17]
	v_add_f64 v[2:3], v[4:5], v[2:3]
	v_addc_co_u32_e64 v4, s[2:3], 0, v6, vcc
	buffer_store_dword v4, off, s[96:99], 0 offset:160 ; 4-byte Folded Spill
	v_mov_b32_e32 v4, 0x3ff00000
	v_cndmask_b32_e32 v25, 0, v4, vcc
	v_add_f64 v[4:5], v[26:27], -v[24:25]
	s_mov_b32 s2, 0x54442d18
	s_mov_b32 s3, 0x3ff921fb
	v_add_f64 v[16:17], v[4:5], v[2:3]
	v_add_f64 v[4:5], v[16:17], -v[4:5]
	v_add_f64 v[2:3], v[2:3], -v[4:5]
	v_mul_f64 v[4:5], v[16:17], s[2:3]
	v_fma_f64 v[24:25], v[16:17], s[2:3], -v[4:5]
	v_fma_f64 v[16:17], v[16:17], s[16:17], v[24:25]
	v_fma_f64 v[2:3], v[2:3], s[2:3], v[16:17]
	v_add_f64 v[40:41], v[4:5], v[2:3]
	v_add_f64 v[4:5], v[40:41], -v[4:5]
	v_add_f64 v[2:3], v[2:3], -v[4:5]
	buffer_store_dword v2, off, s[96:99], 0 offset:168 ; 4-byte Folded Spill
	s_nop 0
	buffer_store_dword v3, off, s[96:99], 0 offset:172 ; 4-byte Folded Spill
	s_andn2_saveexec_b64 s[2:3], s[14:15]
	s_cbranch_execz .LBB0_44
	s_branch .LBB0_43
.LBB0_42:
	s_andn2_saveexec_b64 s[2:3], s[14:15]
	s_cbranch_execz .LBB0_44
.LBB0_43:
	s_mov_b32 s14, 0x6dc9c883
	s_mov_b32 s15, 0x3fe45f30
	s_waitcnt vmcnt(6)
	v_mul_f64 v[2:3], |v[10:11]|, s[14:15]
	s_mov_b32 s14, 0x54442d18
	s_mov_b32 s15, 0xbff921fb
	;; [unrolled: 1-line block ×4, first 2 shown]
	v_rndne_f64_e32 v[2:3], v[2:3]
	v_fma_f64 v[4:5], v[2:3], s[14:15], |v[10:11]|
	v_mul_f64 v[16:17], v[2:3], s[16:17]
	s_mov_b32 s14, 0x252049c0
	s_mov_b32 s15, 0xb97b839a
	v_add_f64 v[24:25], v[4:5], v[16:17]
	v_add_f64 v[26:27], v[4:5], -v[24:25]
	v_fma_f64 v[4:5], v[2:3], s[16:17], v[4:5]
	s_mov_b32 s17, 0x3c91a626
	v_add_f64 v[26:27], v[26:27], v[16:17]
	v_add_f64 v[24:25], v[24:25], -v[4:5]
	v_fma_f64 v[16:17], v[2:3], s[16:17], v[16:17]
	v_add_f64 v[24:25], v[24:25], v[26:27]
	v_add_f64 v[16:17], v[24:25], -v[16:17]
	v_fma_f64 v[16:17], v[2:3], s[14:15], v[16:17]
	v_cvt_i32_f64_e32 v2, v[2:3]
	v_add_f64 v[40:41], v[4:5], v[16:17]
	v_add_f64 v[4:5], v[40:41], -v[4:5]
	v_add_f64 v[4:5], v[16:17], -v[4:5]
	buffer_store_dword v4, off, s[96:99], 0 offset:168 ; 4-byte Folded Spill
	s_nop 0
	buffer_store_dword v5, off, s[96:99], 0 offset:172 ; 4-byte Folded Spill
	buffer_store_dword v2, off, s[96:99], 0 offset:160 ; 4-byte Folded Spill
.LBB0_44:
	s_or_b64 exec, exec, s[2:3]
                                        ; implicit-def: $vgpr2
                                        ; kill: killed $vgpr2
                                        ; implicit-def: $vgpr48_vgpr49
                                        ; implicit-def: $vgpr2_vgpr3
                                        ; kill: killed $vgpr2_vgpr3
	s_and_saveexec_b64 s[2:3], s[10:11]
	s_xor_b64 s[14:15], exec, s[2:3]
	s_cbranch_execz .LBB0_46
; %bb.45:
	s_mov_b32 s2, 0
	s_mov_b32 s3, 0x7b000000
	s_waitcnt vmcnt(6)
	v_cmp_ge_f64_e64 vcc, |v[10:11]|, s[2:3]
	s_movk_i32 s2, 0xff80
	v_ldexp_f64 v[2:3], |v[10:11]|, s2
	v_and_b32_e32 v4, 0x7fffffff, v11
	s_mov_b32 s2, 0
	s_mov_b32 s3, 0x7ff00000
	v_mov_b32_e32 v6, 0x40100000
	s_mov_b32 s16, 0x33145c07
	s_mov_b32 s17, 0x3c91a626
	v_cndmask_b32_e32 v5, v4, v3, vcc
	v_cndmask_b32_e32 v4, v10, v2, vcc
	s_waitcnt vmcnt(3)
	v_mul_f64 v[24:25], v[50:51], v[4:5]
	v_mul_f64 v[2:3], v[32:33], v[4:5]
	v_fma_f64 v[26:27], v[50:51], v[4:5], -v[24:25]
	v_mul_f64 v[50:51], v[12:13], v[4:5]
	v_add_f64 v[30:31], v[2:3], v[26:27]
	v_add_f64 v[48:49], v[30:31], -v[2:3]
	v_add_f64 v[34:35], v[24:25], v[30:31]
	v_add_f64 v[26:27], v[26:27], -v[48:49]
	v_add_f64 v[48:49], v[30:31], -v[48:49]
	v_ldexp_f64 v[16:17], v[34:35], -2
	v_add_f64 v[48:49], v[2:3], -v[48:49]
	v_fract_f64_e32 v[38:39], v[16:17]
	v_cmp_neq_f64_e64 vcc, |v[16:17]|, s[2:3]
	v_add_f64 v[26:27], v[26:27], v[48:49]
	v_fma_f64 v[48:49], v[32:33], v[4:5], -v[2:3]
	v_add_f64 v[2:3], v[34:35], -v[24:25]
	v_fma_f64 v[4:5], v[12:13], v[4:5], -v[50:51]
	v_add_f64 v[52:53], v[50:51], v[48:49]
	v_add_f64 v[24:25], v[30:31], -v[2:3]
	v_add_f64 v[54:55], v[52:53], v[26:27]
	v_add_f64 v[30:31], v[54:55], -v[52:53]
	;; [unrolled: 2-line block ×3, first 2 shown]
	v_add_f64 v[30:31], v[54:55], -v[30:31]
	v_add_f64 v[24:25], v[2:3], -v[24:25]
	;; [unrolled: 1-line block ×4, first 2 shown]
	v_add_f64 v[26:27], v[26:27], v[30:31]
	v_add_f64 v[30:31], v[52:53], -v[50:51]
	v_add_f64 v[34:35], v[48:49], -v[30:31]
	;; [unrolled: 1-line block ×4, first 2 shown]
	buffer_load_dword v50, off, s[96:99], 0 offset:8 ; 4-byte Folded Reload
	buffer_load_dword v51, off, s[96:99], 0 offset:12 ; 4-byte Folded Reload
	v_add_f64 v[30:31], v[34:35], v[30:31]
	v_add_f64 v[26:27], v[30:31], v[26:27]
	;; [unrolled: 1-line block ×4, first 2 shown]
	v_ldexp_f64 v[24:25], v[38:39], 2
	v_cndmask_b32_e32 v17, 0, v25, vcc
	v_cndmask_b32_e32 v16, 0, v24, vcc
	v_add_f64 v[24:25], v[2:3], v[16:17]
	v_cmp_gt_f64_e32 vcc, 0, v[24:25]
	v_mov_b32_e32 v24, 0
	v_cndmask_b32_e32 v25, 0, v6, vcc
	v_add_f64 v[16:17], v[16:17], v[24:25]
	v_add_f64 v[25:26], v[2:3], v[16:17]
	v_cvt_i32_f64_e32 v6, v[25:26]
	v_cvt_f64_i32_e32 v[25:26], v6
	v_add_f64 v[16:17], v[16:17], -v[25:26]
	v_add_f64 v[26:27], v[2:3], v[16:17]
	v_add_f64 v[16:17], v[26:27], -v[16:17]
	v_cmp_le_f64_e32 vcc, 0.5, v[26:27]
	v_add_f64 v[2:3], v[2:3], -v[16:17]
	v_add_f64 v[2:3], v[4:5], v[2:3]
	v_addc_co_u32_e64 v4, s[2:3], 0, v6, vcc
	buffer_store_dword v4, off, s[96:99], 0 offset:184 ; 4-byte Folded Spill
	v_mov_b32_e32 v4, 0x3ff00000
	v_cndmask_b32_e32 v25, 0, v4, vcc
	v_add_f64 v[4:5], v[26:27], -v[24:25]
	s_mov_b32 s2, 0x54442d18
	s_mov_b32 s3, 0x3ff921fb
	v_add_f64 v[16:17], v[4:5], v[2:3]
	v_add_f64 v[4:5], v[16:17], -v[4:5]
	v_add_f64 v[2:3], v[2:3], -v[4:5]
	v_mul_f64 v[4:5], v[16:17], s[2:3]
	v_fma_f64 v[24:25], v[16:17], s[2:3], -v[4:5]
	v_fma_f64 v[16:17], v[16:17], s[16:17], v[24:25]
	v_fma_f64 v[2:3], v[2:3], s[2:3], v[16:17]
	v_add_f64 v[48:49], v[4:5], v[2:3]
	v_add_f64 v[4:5], v[48:49], -v[4:5]
	v_add_f64 v[2:3], v[2:3], -v[4:5]
	buffer_store_dword v2, off, s[96:99], 0 offset:200 ; 4-byte Folded Spill
	s_nop 0
	buffer_store_dword v3, off, s[96:99], 0 offset:204 ; 4-byte Folded Spill
	s_andn2_saveexec_b64 s[2:3], s[14:15]
	s_cbranch_execnz .LBB0_47
	s_branch .LBB0_48
.LBB0_46:
	s_andn2_saveexec_b64 s[2:3], s[14:15]
	s_cbranch_execz .LBB0_48
.LBB0_47:
	s_mov_b32 s14, 0x6dc9c883
	s_mov_b32 s15, 0x3fe45f30
	s_waitcnt vmcnt(6)
	v_mul_f64 v[2:3], |v[10:11]|, s[14:15]
	s_mov_b32 s14, 0x54442d18
	s_mov_b32 s15, 0xbff921fb
	;; [unrolled: 1-line block ×4, first 2 shown]
	v_rndne_f64_e32 v[2:3], v[2:3]
	v_fma_f64 v[4:5], v[2:3], s[14:15], |v[10:11]|
	v_mul_f64 v[16:17], v[2:3], s[16:17]
	s_mov_b32 s14, 0x252049c0
	s_mov_b32 s15, 0xb97b839a
	v_add_f64 v[24:25], v[4:5], v[16:17]
	v_add_f64 v[26:27], v[4:5], -v[24:25]
	v_fma_f64 v[4:5], v[2:3], s[16:17], v[4:5]
	s_mov_b32 s17, 0x3c91a626
	v_add_f64 v[26:27], v[26:27], v[16:17]
	v_add_f64 v[24:25], v[24:25], -v[4:5]
	v_fma_f64 v[16:17], v[2:3], s[16:17], v[16:17]
	v_add_f64 v[24:25], v[24:25], v[26:27]
	v_add_f64 v[16:17], v[24:25], -v[16:17]
	v_fma_f64 v[16:17], v[2:3], s[14:15], v[16:17]
	v_cvt_i32_f64_e32 v2, v[2:3]
	v_add_f64 v[48:49], v[4:5], v[16:17]
	v_add_f64 v[4:5], v[48:49], -v[4:5]
	v_add_f64 v[4:5], v[16:17], -v[4:5]
	buffer_store_dword v4, off, s[96:99], 0 offset:200 ; 4-byte Folded Spill
	s_nop 0
	buffer_store_dword v5, off, s[96:99], 0 offset:204 ; 4-byte Folded Spill
	buffer_store_dword v2, off, s[96:99], 0 offset:184 ; 4-byte Folded Spill
.LBB0_48:
	s_or_b64 exec, exec, s[2:3]
	v_mov_b32_e32 v29, v13
	v_mov_b32_e32 v28, v12
	s_and_b64 vcc, exec, s[6:7]
	buffer_store_dword v18, off, s[96:99], 0 ; 4-byte Folded Spill
	s_nop 0
	buffer_store_dword v19, off, s[96:99], 0 offset:4 ; 4-byte Folded Spill
	s_cbranch_vccz .LBB0_50
; %bb.49:
	s_mov_b32 s2, 0
	s_mov_b32 s3, 0x7b000000
	v_cmp_ge_f64_e64 vcc, |v[0:1]|, s[2:3]
	s_movk_i32 s2, 0xff80
	v_ldexp_f64 v[2:3], |v[0:1]|, s2
	v_and_b32_e32 v4, 0x7fffffff, v1
	v_mov_b32_e32 v20, v56
	v_mov_b32_e32 v21, v57
	s_mov_b32 s2, 0
	s_mov_b32 s3, 0x7ff00000
	;; [unrolled: 1-line block ×3, first 2 shown]
	v_mov_b32_e32 v13, v60
	v_cndmask_b32_e32 v5, v4, v3, vcc
	v_cndmask_b32_e32 v4, v0, v2, vcc
	v_mul_f64 v[24:25], v[22:23], v[4:5]
	v_mul_f64 v[2:3], v[56:57], v[4:5]
	;; [unrolled: 1-line block ×3, first 2 shown]
	v_mov_b32_e32 v14, v61
	v_fma_f64 v[26:27], v[22:23], v[4:5], -v[24:25]
	v_add_f64 v[30:31], v[2:3], v[26:27]
	v_add_f64 v[52:53], v[30:31], -v[2:3]
	v_add_f64 v[34:35], v[24:25], v[30:31]
	v_add_f64 v[26:27], v[26:27], -v[52:53]
	v_add_f64 v[52:53], v[30:31], -v[52:53]
	v_ldexp_f64 v[16:17], v[34:35], -2
	v_add_f64 v[52:53], v[2:3], -v[52:53]
	v_fract_f64_e32 v[38:39], v[16:17]
	v_cmp_neq_f64_e64 vcc, |v[16:17]|, s[2:3]
	v_add_f64 v[26:27], v[26:27], v[52:53]
	v_fma_f64 v[52:53], v[56:57], v[4:5], -v[2:3]
	v_add_f64 v[2:3], v[34:35], -v[24:25]
	v_fma_f64 v[4:5], v[60:61], v[4:5], -v[54:55]
	v_add_f64 v[56:57], v[54:55], v[52:53]
	v_add_f64 v[24:25], v[30:31], -v[2:3]
	v_add_f64 v[58:59], v[56:57], v[26:27]
	v_add_f64 v[30:31], v[58:59], -v[56:57]
	;; [unrolled: 2-line block ×3, first 2 shown]
	v_add_f64 v[30:31], v[58:59], -v[30:31]
	v_add_f64 v[24:25], v[2:3], -v[24:25]
	;; [unrolled: 1-line block ×4, first 2 shown]
	v_add_f64 v[26:27], v[26:27], v[30:31]
	v_add_f64 v[30:31], v[56:57], -v[54:55]
	v_add_f64 v[34:35], v[52:53], -v[30:31]
	;; [unrolled: 1-line block ×4, first 2 shown]
	v_add_f64 v[30:31], v[34:35], v[30:31]
	v_add_f64 v[26:27], v[30:31], v[26:27]
	;; [unrolled: 1-line block ×4, first 2 shown]
	v_ldexp_f64 v[24:25], v[38:39], 2
	v_cndmask_b32_e32 v17, 0, v25, vcc
	v_cndmask_b32_e32 v16, 0, v24, vcc
	v_add_f64 v[24:25], v[2:3], v[16:17]
	v_cmp_gt_f64_e32 vcc, 0, v[24:25]
	s_and_b64 s[2:3], vcc, exec
	s_cselect_b32 s15, 0x40100000, 0
	v_add_f64 v[16:17], v[16:17], s[14:15]
	v_add_f64 v[24:25], v[2:3], v[16:17]
	v_cvt_i32_f64_e32 v6, v[24:25]
	v_cvt_f64_i32_e32 v[24:25], v6
	v_add_f64 v[16:17], v[16:17], -v[24:25]
	v_add_f64 v[24:25], v[2:3], v[16:17]
	v_add_f64 v[16:17], v[24:25], -v[16:17]
	v_cmp_le_f64_e32 vcc, 0.5, v[24:25]
	v_add_f64 v[2:3], v[2:3], -v[16:17]
	s_and_b64 s[2:3], vcc, exec
	s_cselect_b32 s15, 0x3ff00000, 0
	v_addc_co_u32_e64 v62, s[2:3], 0, v6, vcc
	s_mov_b32 s2, 0x54442d18
	s_mov_b32 s3, 0x3ff921fb
	v_add_f64 v[2:3], v[4:5], v[2:3]
	v_add_f64 v[4:5], v[24:25], -s[14:15]
	s_mov_b32 s14, 0x33145c07
	s_mov_b32 s15, 0x3c91a626
	v_add_f64 v[16:17], v[4:5], v[2:3]
	v_add_f64 v[4:5], v[16:17], -v[4:5]
	v_mul_f64 v[24:25], v[16:17], s[2:3]
	v_add_f64 v[2:3], v[2:3], -v[4:5]
	v_fma_f64 v[4:5], v[16:17], s[2:3], -v[24:25]
	v_fma_f64 v[4:5], v[16:17], s[14:15], v[4:5]
	v_fma_f64 v[2:3], v[2:3], s[2:3], v[4:5]
	v_add_f64 v[4:5], v[24:25], v[2:3]
	v_add_f64 v[16:17], v[4:5], -v[24:25]
	v_add_f64 v[52:53], v[2:3], -v[16:17]
	s_cbranch_execz .LBB0_51
	s_branch .LBB0_52
.LBB0_50:
	v_mov_b32_e32 v20, v56
	v_mov_b32_e32 v13, v60
	;; [unrolled: 1-line block ×4, first 2 shown]
                                        ; implicit-def: $vgpr62
                                        ; implicit-def: $vgpr4_vgpr5
                                        ; implicit-def: $vgpr52_vgpr53
.LBB0_51:
	s_mov_b32 s2, 0x6dc9c883
	s_mov_b32 s3, 0x3fe45f30
	v_mul_f64 v[2:3], |v[0:1]|, s[2:3]
	s_mov_b32 s2, 0x54442d18
	s_mov_b32 s3, 0xbff921fb
	;; [unrolled: 1-line block ×4, first 2 shown]
	v_rndne_f64_e32 v[2:3], v[2:3]
	v_fma_f64 v[4:5], v[2:3], s[2:3], |v[0:1]|
	v_mul_f64 v[16:17], v[2:3], s[14:15]
	s_mov_b32 s2, 0x252049c0
	s_mov_b32 s3, 0xb97b839a
	v_cvt_i32_f64_e32 v62, v[2:3]
	v_fma_f64 v[30:31], v[2:3], s[14:15], v[4:5]
	v_add_f64 v[24:25], v[4:5], v[16:17]
	s_mov_b32 s15, 0x3c91a626
	v_add_f64 v[26:27], v[4:5], -v[24:25]
	v_add_f64 v[24:25], v[24:25], -v[30:31]
	v_add_f64 v[4:5], v[26:27], v[16:17]
	v_fma_f64 v[16:17], v[2:3], s[14:15], v[16:17]
	v_add_f64 v[4:5], v[24:25], v[4:5]
	v_add_f64 v[4:5], v[4:5], -v[16:17]
	v_fma_f64 v[16:17], v[2:3], s[2:3], v[4:5]
	v_add_f64 v[4:5], v[30:31], v[16:17]
	v_add_f64 v[24:25], v[4:5], -v[30:31]
	v_add_f64 v[52:53], v[16:17], -v[24:25]
.LBB0_52:
                                        ; implicit-def: $vgpr2
                                        ; kill: killed $vgpr2
                                        ; implicit-def: $vgpr54_vgpr55
                                        ; implicit-def: $vgpr56_vgpr57
	s_and_saveexec_b64 s[2:3], s[10:11]
	s_xor_b64 s[14:15], exec, s[2:3]
	s_cbranch_execz .LBB0_54
; %bb.53:
	s_mov_b32 s2, 0
	s_mov_b32 s3, 0x7b000000
	s_waitcnt vmcnt(8)
	v_cmp_ge_f64_e64 vcc, |v[10:11]|, s[2:3]
	s_movk_i32 s2, 0xff80
	v_ldexp_f64 v[2:3], |v[10:11]|, s2
	v_and_b32_e32 v6, 0x7fffffff, v11
	v_mov_b32_e32 v18, v28
	v_mov_b32_e32 v19, v29
	s_mov_b32 s2, 0
	s_mov_b32 s3, 0x7ff00000
	;; [unrolled: 1-line block ×4, first 2 shown]
	v_cndmask_b32_e32 v17, v6, v3, vcc
	v_cndmask_b32_e32 v16, v10, v2, vcc
	s_waitcnt vmcnt(5)
	v_mul_f64 v[26:27], v[50:51], v[16:17]
	v_mul_f64 v[2:3], v[32:33], v[16:17]
	;; [unrolled: 1-line block ×3, first 2 shown]
	v_fma_f64 v[30:31], v[50:51], v[16:17], -v[26:27]
	v_add_f64 v[38:39], v[2:3], v[30:31]
	v_add_f64 v[58:59], v[38:39], -v[2:3]
	v_add_f64 v[54:55], v[26:27], v[38:39]
	v_add_f64 v[30:31], v[30:31], -v[58:59]
	v_add_f64 v[58:59], v[38:39], -v[58:59]
	v_ldexp_f64 v[24:25], v[54:55], -2
	v_add_f64 v[58:59], v[2:3], -v[58:59]
	v_fract_f64_e32 v[56:57], v[24:25]
	v_cmp_neq_f64_e64 vcc, |v[24:25]|, s[2:3]
	v_add_f64 v[30:31], v[30:31], v[58:59]
	v_fma_f64 v[58:59], v[32:33], v[16:17], -v[2:3]
	v_add_f64 v[2:3], v[54:55], -v[26:27]
	v_add_f64 v[6:7], v[60:61], v[58:59]
	v_add_f64 v[26:27], v[38:39], -v[2:3]
	v_add_f64 v[8:9], v[6:7], v[30:31]
	v_add_f64 v[2:3], v[26:27], v[8:9]
	v_add_f64 v[38:39], v[8:9], -v[6:7]
	v_add_f64 v[26:27], v[2:3], -v[26:27]
	;; [unrolled: 1-line block ×6, first 2 shown]
	v_add_f64 v[8:9], v[30:31], v[8:9]
	v_add_f64 v[30:31], v[6:7], -v[60:61]
	v_add_f64 v[6:7], v[6:7], -v[30:31]
	;; [unrolled: 1-line block ×4, first 2 shown]
	v_add_f64 v[6:7], v[38:39], v[6:7]
	v_add_f64 v[6:7], v[6:7], v[8:9]
	v_fma_f64 v[8:9], v[18:19], v[16:17], -v[60:61]
	v_add_f64 v[6:7], v[8:9], v[6:7]
	v_add_f64 v[16:17], v[26:27], v[6:7]
	v_ldexp_f64 v[6:7], v[56:57], 2
	v_cndmask_b32_e32 v7, 0, v7, vcc
	v_cndmask_b32_e32 v6, 0, v6, vcc
	v_add_f64 v[8:9], v[2:3], v[6:7]
	v_cmp_gt_f64_e32 vcc, 0, v[8:9]
	v_mov_b32_e32 v8, 0x40100000
	v_cndmask_b32_e32 v9, 0, v8, vcc
	v_mov_b32_e32 v8, 0
	v_add_f64 v[6:7], v[6:7], v[8:9]
	v_add_f64 v[24:25], v[2:3], v[6:7]
	v_cvt_i32_f64_e32 v9, v[24:25]
	v_cvt_f64_i32_e32 v[24:25], v9
	v_add_f64 v[6:7], v[6:7], -v[24:25]
	v_add_f64 v[24:25], v[2:3], v[6:7]
	v_add_f64 v[6:7], v[24:25], -v[6:7]
	v_cmp_le_f64_e32 vcc, 0.5, v[24:25]
	v_add_f64 v[2:3], v[2:3], -v[6:7]
	v_addc_co_u32_e64 v6, s[2:3], 0, v9, vcc
	buffer_store_dword v6, off, s[96:99], 0 offset:216 ; 4-byte Folded Spill
	v_mov_b32_e32 v6, 0x3ff00000
	v_cndmask_b32_e32 v9, 0, v6, vcc
	v_add_f64 v[6:7], v[24:25], -v[8:9]
	s_mov_b32 s2, 0x54442d18
	v_add_f64 v[2:3], v[16:17], v[2:3]
	s_mov_b32 s3, 0x3ff921fb
	v_add_f64 v[8:9], v[6:7], v[2:3]
	v_add_f64 v[6:7], v[8:9], -v[6:7]
	v_add_f64 v[2:3], v[2:3], -v[6:7]
	v_mul_f64 v[6:7], v[8:9], s[2:3]
	v_fma_f64 v[16:17], v[8:9], s[2:3], -v[6:7]
	v_fma_f64 v[8:9], v[8:9], s[16:17], v[16:17]
	v_fma_f64 v[2:3], v[2:3], s[2:3], v[8:9]
	v_add_f64 v[54:55], v[6:7], v[2:3]
	v_add_f64 v[6:7], v[54:55], -v[6:7]
	v_add_f64 v[56:57], v[2:3], -v[6:7]
	s_andn2_saveexec_b64 s[2:3], s[14:15]
	s_cbranch_execz .LBB0_56
	s_branch .LBB0_55
.LBB0_54:
	s_andn2_saveexec_b64 s[2:3], s[14:15]
	s_cbranch_execz .LBB0_56
.LBB0_55:
	s_mov_b32 s14, 0x6dc9c883
	s_mov_b32 s15, 0x3fe45f30
	s_waitcnt vmcnt(8)
	v_mul_f64 v[2:3], |v[10:11]|, s[14:15]
	s_mov_b32 s14, 0x54442d18
	s_mov_b32 s15, 0xbff921fb
	;; [unrolled: 1-line block ×4, first 2 shown]
	v_rndne_f64_e32 v[2:3], v[2:3]
	v_fma_f64 v[16:17], v[2:3], s[14:15], |v[10:11]|
	v_mul_f64 v[24:25], v[2:3], s[16:17]
	s_mov_b32 s14, 0x252049c0
	s_mov_b32 s15, 0xb97b839a
	v_add_f64 v[26:27], v[16:17], v[24:25]
	v_add_f64 v[30:31], v[16:17], -v[26:27]
	v_fma_f64 v[16:17], v[2:3], s[16:17], v[16:17]
	s_mov_b32 s17, 0x3c91a626
	v_add_f64 v[30:31], v[30:31], v[24:25]
	v_add_f64 v[26:27], v[26:27], -v[16:17]
	v_fma_f64 v[24:25], v[2:3], s[16:17], v[24:25]
	v_add_f64 v[26:27], v[26:27], v[30:31]
	v_add_f64 v[24:25], v[26:27], -v[24:25]
	v_fma_f64 v[24:25], v[2:3], s[14:15], v[24:25]
	v_cvt_i32_f64_e32 v2, v[2:3]
	buffer_store_dword v2, off, s[96:99], 0 offset:216 ; 4-byte Folded Spill
	v_add_f64 v[54:55], v[16:17], v[24:25]
	v_add_f64 v[16:17], v[54:55], -v[16:17]
	v_add_f64 v[56:57], v[24:25], -v[16:17]
.LBB0_56:
	s_or_b64 exec, exec, s[2:3]
                                        ; implicit-def: $vgpr2
                                        ; kill: killed $vgpr2
                                        ; implicit-def: $vgpr16_vgpr17
                                        ; implicit-def: $vgpr2_vgpr3
	s_and_saveexec_b64 s[2:3], s[10:11]
	s_xor_b64 s[14:15], exec, s[2:3]
	s_cbranch_execz .LBB0_58
; %bb.57:
	s_mov_b32 s2, 0
	s_mov_b32 s3, 0x7b000000
	s_waitcnt vmcnt(8)
	v_cmp_ge_f64_e64 vcc, |v[10:11]|, s[2:3]
	s_movk_i32 s2, 0xff80
	v_ldexp_f64 v[2:3], |v[10:11]|, s2
	v_and_b32_e32 v6, 0x7fffffff, v11
	v_mov_b32_e32 v35, v29
	v_mov_b32_e32 v34, v28
	s_mov_b32 s2, 0
	s_mov_b32 s3, 0x7ff00000
	;; [unrolled: 1-line block ×4, first 2 shown]
	v_cndmask_b32_e32 v7, v6, v3, vcc
	v_cndmask_b32_e32 v6, v10, v2, vcc
	s_waitcnt vmcnt(5)
	v_mul_f64 v[8:9], v[50:51], v[6:7]
	v_mul_f64 v[2:3], v[32:33], v[6:7]
	;; [unrolled: 1-line block ×3, first 2 shown]
	v_fma_f64 v[16:17], v[50:51], v[6:7], -v[8:9]
	v_add_f64 v[26:27], v[2:3], v[16:17]
	v_add_f64 v[58:59], v[26:27], -v[2:3]
	v_add_f64 v[30:31], v[8:9], v[26:27]
	v_add_f64 v[16:17], v[16:17], -v[58:59]
	v_add_f64 v[58:59], v[26:27], -v[58:59]
	v_ldexp_f64 v[24:25], v[30:31], -2
	v_add_f64 v[58:59], v[2:3], -v[58:59]
	v_fract_f64_e32 v[38:39], v[24:25]
	v_cmp_neq_f64_e64 vcc, |v[24:25]|, s[2:3]
	v_add_f64 v[16:17], v[16:17], v[58:59]
	v_fma_f64 v[58:59], v[32:33], v[6:7], -v[2:3]
	v_add_f64 v[2:3], v[30:31], -v[8:9]
	v_fma_f64 v[6:7], v[34:35], v[6:7], -v[60:61]
	v_add_f64 v[10:11], v[60:61], v[58:59]
	v_add_f64 v[8:9], v[26:27], -v[2:3]
	v_add_f64 v[18:19], v[10:11], v[16:17]
	v_add_f64 v[2:3], v[8:9], v[18:19]
	v_add_f64 v[26:27], v[18:19], -v[10:11]
	v_add_f64 v[8:9], v[2:3], -v[8:9]
	;; [unrolled: 1-line block ×6, first 2 shown]
	v_add_f64 v[16:17], v[16:17], v[18:19]
	v_add_f64 v[18:19], v[10:11], -v[60:61]
	v_add_f64 v[10:11], v[10:11], -v[18:19]
	;; [unrolled: 1-line block ×4, first 2 shown]
	v_add_f64 v[10:11], v[26:27], v[10:11]
	v_add_f64 v[10:11], v[10:11], v[16:17]
	v_add_f64 v[6:7], v[6:7], v[10:11]
	v_add_f64 v[16:17], v[8:9], v[6:7]
	v_ldexp_f64 v[6:7], v[38:39], 2
	v_cndmask_b32_e32 v7, 0, v7, vcc
	v_cndmask_b32_e32 v6, 0, v6, vcc
	v_add_f64 v[8:9], v[2:3], v[6:7]
	v_cmp_gt_f64_e32 vcc, 0, v[8:9]
	v_mov_b32_e32 v8, 0x40100000
	v_cndmask_b32_e32 v9, 0, v8, vcc
	v_mov_b32_e32 v8, 0
	v_add_f64 v[6:7], v[6:7], v[8:9]
	v_add_f64 v[9:10], v[2:3], v[6:7]
	v_cvt_i32_f64_e32 v12, v[9:10]
	v_cvt_f64_i32_e32 v[9:10], v12
	v_add_f64 v[6:7], v[6:7], -v[9:10]
	v_add_f64 v[10:11], v[2:3], v[6:7]
	v_add_f64 v[6:7], v[10:11], -v[6:7]
	v_cmp_le_f64_e32 vcc, 0.5, v[10:11]
	v_add_f64 v[2:3], v[2:3], -v[6:7]
	v_addc_co_u32_e64 v6, s[2:3], 0, v12, vcc
	buffer_store_dword v6, off, s[96:99], 0 offset:208 ; 4-byte Folded Spill
	v_mov_b32_e32 v6, 0x3ff00000
	v_cndmask_b32_e32 v9, 0, v6, vcc
	v_add_f64 v[6:7], v[10:11], -v[8:9]
	s_mov_b32 s2, 0x54442d18
	v_add_f64 v[2:3], v[16:17], v[2:3]
	s_mov_b32 s3, 0x3ff921fb
	v_add_f64 v[8:9], v[6:7], v[2:3]
	v_add_f64 v[6:7], v[8:9], -v[6:7]
	v_add_f64 v[2:3], v[2:3], -v[6:7]
	v_mul_f64 v[6:7], v[8:9], s[2:3]
	v_fma_f64 v[10:11], v[8:9], s[2:3], -v[6:7]
	v_fma_f64 v[8:9], v[8:9], s[16:17], v[10:11]
	buffer_load_dword v10, off, s[96:99], 0 offset:24 ; 4-byte Folded Reload
	buffer_load_dword v11, off, s[96:99], 0 offset:28 ; 4-byte Folded Reload
	v_fma_f64 v[8:9], v[2:3], s[2:3], v[8:9]
	v_add_f64 v[2:3], v[6:7], v[8:9]
	v_add_f64 v[6:7], v[2:3], -v[6:7]
	v_add_f64 v[16:17], v[8:9], -v[6:7]
	s_andn2_saveexec_b64 s[2:3], s[14:15]
	s_cbranch_execnz .LBB0_59
	s_branch .LBB0_60
.LBB0_58:
	s_andn2_saveexec_b64 s[2:3], s[14:15]
	s_cbranch_execz .LBB0_60
.LBB0_59:
	s_mov_b32 s14, 0x6dc9c883
	s_mov_b32 s15, 0x3fe45f30
	s_waitcnt vmcnt(0)
	v_mul_f64 v[2:3], |v[10:11]|, s[14:15]
	s_mov_b32 s14, 0x54442d18
	s_mov_b32 s15, 0xbff921fb
	;; [unrolled: 1-line block ×4, first 2 shown]
	v_rndne_f64_e32 v[6:7], v[2:3]
	v_fma_f64 v[2:3], v[6:7], s[14:15], |v[10:11]|
	v_mul_f64 v[8:9], v[6:7], s[16:17]
	s_mov_b32 s14, 0x252049c0
	s_mov_b32 s15, 0xb97b839a
	v_fma_f64 v[26:27], v[6:7], s[16:17], v[2:3]
	v_add_f64 v[16:17], v[2:3], v[8:9]
	s_mov_b32 s17, 0x3c91a626
	v_add_f64 v[24:25], v[2:3], -v[16:17]
	v_add_f64 v[16:17], v[16:17], -v[26:27]
	v_add_f64 v[2:3], v[24:25], v[8:9]
	v_fma_f64 v[8:9], v[6:7], s[16:17], v[8:9]
	v_add_f64 v[2:3], v[16:17], v[2:3]
	v_add_f64 v[2:3], v[2:3], -v[8:9]
	v_fma_f64 v[8:9], v[6:7], s[14:15], v[2:3]
	v_cvt_i32_f64_e32 v6, v[6:7]
	buffer_store_dword v6, off, s[96:99], 0 offset:208 ; 4-byte Folded Spill
	v_add_f64 v[2:3], v[26:27], v[8:9]
	v_add_f64 v[16:17], v[2:3], -v[26:27]
	v_add_f64 v[16:17], v[8:9], -v[16:17]
.LBB0_60:
	s_or_b64 exec, exec, s[2:3]
	v_mov_b32_e32 v34, v46
	v_mov_b32_e32 v35, v47
	s_and_b64 vcc, exec, s[6:7]
	s_cbranch_vccz .LBB0_62
; %bb.61:
	s_mov_b32 s2, 0
	s_mov_b32 s3, 0x7b000000
	v_cmp_ge_f64_e64 vcc, |v[0:1]|, s[2:3]
	s_movk_i32 s2, 0xff80
	v_ldexp_f64 v[6:7], |v[0:1]|, s2
	v_and_b32_e32 v8, 0x7fffffff, v1
	s_mov_b32 s2, 0
	s_mov_b32 s3, 0x7ff00000
	;; [unrolled: 1-line block ×3, first 2 shown]
	v_cndmask_b32_e32 v7, v8, v7, vcc
	v_cndmask_b32_e32 v6, v0, v6, vcc
	v_mul_f64 v[18:19], v[22:23], v[6:7]
	v_mul_f64 v[8:9], v[20:21], v[6:7]
	;; [unrolled: 1-line block ×3, first 2 shown]
	v_fma_f64 v[24:25], v[22:23], v[6:7], -v[18:19]
	v_add_f64 v[26:27], v[8:9], v[24:25]
	v_add_f64 v[58:59], v[26:27], -v[8:9]
	v_add_f64 v[30:31], v[18:19], v[26:27]
	v_add_f64 v[24:25], v[24:25], -v[58:59]
	v_add_f64 v[58:59], v[26:27], -v[58:59]
	s_waitcnt vmcnt(0)
	v_ldexp_f64 v[10:11], v[30:31], -2
	v_add_f64 v[58:59], v[8:9], -v[58:59]
	v_fract_f64_e32 v[38:39], v[10:11]
	v_cmp_neq_f64_e64 vcc, |v[10:11]|, s[2:3]
	v_add_f64 v[24:25], v[24:25], v[58:59]
	v_fma_f64 v[58:59], v[20:21], v[6:7], -v[8:9]
	v_add_f64 v[8:9], v[30:31], -v[18:19]
	v_fma_f64 v[6:7], v[13:14], v[6:7], -v[60:61]
	v_add_f64 v[42:43], v[60:61], v[58:59]
	v_add_f64 v[18:19], v[26:27], -v[8:9]
	v_add_f64 v[46:47], v[42:43], v[24:25]
	v_add_f64 v[26:27], v[46:47], -v[42:43]
	;; [unrolled: 2-line block ×3, first 2 shown]
	v_add_f64 v[26:27], v[46:47], -v[26:27]
	v_add_f64 v[18:19], v[8:9], -v[18:19]
	v_add_f64 v[26:27], v[42:43], -v[26:27]
	v_add_f64 v[18:19], v[46:47], -v[18:19]
	v_add_f64 v[24:25], v[24:25], v[26:27]
	v_add_f64 v[26:27], v[42:43], -v[60:61]
	v_add_f64 v[30:31], v[58:59], -v[26:27]
	;; [unrolled: 1-line block ×4, first 2 shown]
	v_add_f64 v[26:27], v[30:31], v[26:27]
	v_add_f64 v[24:25], v[26:27], v[24:25]
	;; [unrolled: 1-line block ×4, first 2 shown]
	v_ldexp_f64 v[18:19], v[38:39], 2
	v_cndmask_b32_e32 v11, 0, v19, vcc
	v_cndmask_b32_e32 v10, 0, v18, vcc
	v_add_f64 v[18:19], v[8:9], v[10:11]
	v_cmp_gt_f64_e32 vcc, 0, v[18:19]
	s_and_b64 s[2:3], vcc, exec
	s_cselect_b32 s7, 0x40100000, 0
	v_add_f64 v[10:11], v[10:11], s[6:7]
	v_add_f64 v[18:19], v[8:9], v[10:11]
	v_cvt_i32_f64_e32 v12, v[18:19]
	v_cvt_f64_i32_e32 v[18:19], v12
	v_add_f64 v[10:11], v[10:11], -v[18:19]
	v_add_f64 v[18:19], v[8:9], v[10:11]
	v_add_f64 v[10:11], v[18:19], -v[10:11]
	v_cmp_le_f64_e32 vcc, 0.5, v[18:19]
	v_add_f64 v[8:9], v[8:9], -v[10:11]
	s_and_b64 s[2:3], vcc, exec
	s_cselect_b32 s7, 0x3ff00000, 0
	v_addc_co_u32_e64 v38, s[2:3], 0, v12, vcc
	s_mov_b32 s2, 0x54442d18
	s_mov_b32 s3, 0x3ff921fb
	v_add_f64 v[6:7], v[6:7], v[8:9]
	v_add_f64 v[8:9], v[18:19], -s[6:7]
	s_mov_b32 s6, 0x33145c07
	s_mov_b32 s7, 0x3c91a626
	v_add_f64 v[10:11], v[8:9], v[6:7]
	v_add_f64 v[8:9], v[10:11], -v[8:9]
	v_add_f64 v[6:7], v[6:7], -v[8:9]
	v_mul_f64 v[8:9], v[10:11], s[2:3]
	v_fma_f64 v[18:19], v[10:11], s[2:3], -v[8:9]
	v_fma_f64 v[10:11], v[10:11], s[6:7], v[18:19]
	v_fma_f64 v[6:7], v[6:7], s[2:3], v[10:11]
	v_add_f64 v[24:25], v[8:9], v[6:7]
	v_add_f64 v[8:9], v[24:25], -v[8:9]
	v_add_f64 v[58:59], v[6:7], -v[8:9]
	s_cbranch_execz .LBB0_63
	s_branch .LBB0_64
.LBB0_62:
                                        ; implicit-def: $vgpr38
                                        ; implicit-def: $vgpr24_vgpr25
                                        ; implicit-def: $vgpr58_vgpr59
.LBB0_63:
	s_mov_b32 s2, 0x6dc9c883
	s_mov_b32 s3, 0x3fe45f30
	v_mul_f64 v[6:7], |v[0:1]|, s[2:3]
	s_mov_b32 s2, 0x54442d18
	s_mov_b32 s3, 0xbff921fb
	;; [unrolled: 1-line block ×4, first 2 shown]
	v_rndne_f64_e32 v[6:7], v[6:7]
	v_fma_f64 v[8:9], v[6:7], s[2:3], |v[0:1]|
	s_waitcnt vmcnt(0)
	v_mul_f64 v[10:11], v[6:7], s[6:7]
	s_mov_b32 s2, 0x252049c0
	s_mov_b32 s3, 0xb97b839a
	v_cvt_i32_f64_e32 v38, v[6:7]
	v_add_f64 v[18:19], v[8:9], v[10:11]
	v_add_f64 v[24:25], v[8:9], -v[18:19]
	v_fma_f64 v[8:9], v[6:7], s[6:7], v[8:9]
	s_mov_b32 s7, 0x3c91a626
	v_add_f64 v[24:25], v[24:25], v[10:11]
	v_add_f64 v[18:19], v[18:19], -v[8:9]
	v_fma_f64 v[10:11], v[6:7], s[6:7], v[10:11]
	v_add_f64 v[18:19], v[18:19], v[24:25]
	v_add_f64 v[10:11], v[18:19], -v[10:11]
	v_fma_f64 v[10:11], v[6:7], s[2:3], v[10:11]
	v_add_f64 v[24:25], v[8:9], v[10:11]
	v_add_f64 v[8:9], v[24:25], -v[8:9]
	v_add_f64 v[58:59], v[10:11], -v[8:9]
.LBB0_64:
                                        ; implicit-def: $vgpr0
                                        ; implicit-def: $vgpr60_vgpr61
                                        ; implicit-def: $vgpr10_vgpr11
	s_and_saveexec_b64 s[2:3], s[12:13]
	s_xor_b64 s[6:7], exec, s[2:3]
	s_cbranch_execz .LBB0_66
; %bb.65:
	buffer_load_dword v8, off, s[96:99], 0 offset:472 ; 4-byte Folded Reload
	buffer_load_dword v9, off, s[96:99], 0 offset:476 ; 4-byte Folded Reload
	;; [unrolled: 1-line block ×6, first 2 shown]
	s_mov_b32 s2, 0
	s_mov_b32 s3, 0x7b000000
	;; [unrolled: 1-line block ×4, first 2 shown]
	s_waitcnt vmcnt(4)
	v_cmp_ge_f64_e64 vcc, |v[8:9]|, s[2:3]
	s_movk_i32 s2, 0xff80
	v_ldexp_f64 v[6:7], |v[8:9]|, s2
	v_and_b32_e32 v0, 0x7fffffff, v9
	s_mov_b32 s2, 0
	s_mov_b32 s3, 0x7ff00000
	v_cndmask_b32_e32 v9, v0, v7, vcc
	v_cndmask_b32_e32 v8, v8, v6, vcc
	s_waitcnt vmcnt(0)
	v_mul_f64 v[18:19], v[10:11], v[8:9]
	v_mul_f64 v[6:7], v[12:13], v[8:9]
	;; [unrolled: 1-line block ×3, first 2 shown]
	v_mov_b32_e32 v0, 0x40100000
	v_fma_f64 v[26:27], v[10:11], v[8:9], -v[18:19]
	v_add_f64 v[30:31], v[6:7], v[26:27]
	v_add_f64 v[60:61], v[30:31], -v[6:7]
	v_add_f64 v[42:43], v[18:19], v[30:31]
	v_add_f64 v[26:27], v[26:27], -v[60:61]
	v_add_f64 v[60:61], v[30:31], -v[60:61]
	v_ldexp_f64 v[10:11], v[42:43], -2
	v_add_f64 v[60:61], v[6:7], -v[60:61]
	v_fract_f64_e32 v[46:47], v[10:11]
	v_cmp_neq_f64_e64 vcc, |v[10:11]|, s[2:3]
	v_add_f64 v[26:27], v[26:27], v[60:61]
	v_fma_f64 v[60:61], v[12:13], v[8:9], -v[6:7]
	v_add_f64 v[6:7], v[42:43], -v[18:19]
	v_fma_f64 v[8:9], v[34:35], v[8:9], -v[50:51]
	v_add_f64 v[12:13], v[50:51], v[60:61]
	v_add_f64 v[18:19], v[30:31], -v[6:7]
	v_add_f64 v[14:15], v[12:13], v[26:27]
	v_add_f64 v[6:7], v[18:19], v[14:15]
	v_add_f64 v[30:31], v[14:15], -v[12:13]
	v_add_f64 v[18:19], v[6:7], -v[18:19]
	v_add_f64 v[26:27], v[26:27], -v[30:31]
	v_add_f64 v[18:19], v[14:15], -v[18:19]
	v_add_f64 v[14:15], v[14:15], -v[30:31]
	v_add_f64 v[14:15], v[12:13], -v[14:15]
	v_add_f64 v[14:15], v[26:27], v[14:15]
	v_add_f64 v[26:27], v[12:13], -v[50:51]
	v_add_f64 v[12:13], v[12:13], -v[26:27]
	v_add_f64 v[30:31], v[60:61], -v[26:27]
	v_add_f64 v[12:13], v[50:51], -v[12:13]
	buffer_load_dword v50, off, s[96:99], 0 offset:8 ; 4-byte Folded Reload
	buffer_load_dword v51, off, s[96:99], 0 offset:12 ; 4-byte Folded Reload
	v_add_f64 v[12:13], v[30:31], v[12:13]
	v_add_f64 v[12:13], v[12:13], v[14:15]
	;; [unrolled: 1-line block ×3, first 2 shown]
	v_ldexp_f64 v[12:13], v[46:47], 2
	v_add_f64 v[8:9], v[18:19], v[8:9]
	v_cndmask_b32_e32 v11, 0, v13, vcc
	v_cndmask_b32_e32 v10, 0, v12, vcc
	v_add_f64 v[12:13], v[6:7], v[10:11]
	v_cmp_gt_f64_e32 vcc, 0, v[12:13]
	v_mov_b32_e32 v12, 0
	v_cndmask_b32_e32 v13, 0, v0, vcc
	v_add_f64 v[10:11], v[10:11], v[12:13]
	v_add_f64 v[13:14], v[6:7], v[10:11]
	v_cvt_i32_f64_e32 v0, v[13:14]
	v_cvt_f64_i32_e32 v[13:14], v0
	v_add_f64 v[10:11], v[10:11], -v[13:14]
	v_add_f64 v[14:15], v[6:7], v[10:11]
	v_add_f64 v[10:11], v[14:15], -v[10:11]
	v_cmp_le_f64_e32 vcc, 0.5, v[14:15]
	v_add_f64 v[6:7], v[6:7], -v[10:11]
	v_addc_co_u32_e64 v0, s[2:3], 0, v0, vcc
	s_mov_b32 s2, 0x54442d18
	s_mov_b32 s3, 0x3ff921fb
	v_add_f64 v[6:7], v[8:9], v[6:7]
	v_mov_b32_e32 v8, 0x3ff00000
	v_cndmask_b32_e32 v13, 0, v8, vcc
	v_add_f64 v[8:9], v[14:15], -v[12:13]
	v_add_f64 v[10:11], v[8:9], v[6:7]
	v_add_f64 v[8:9], v[10:11], -v[8:9]
	v_add_f64 v[6:7], v[6:7], -v[8:9]
	v_mul_f64 v[8:9], v[10:11], s[2:3]
	v_fma_f64 v[12:13], v[10:11], s[2:3], -v[8:9]
	v_fma_f64 v[10:11], v[10:11], s[12:13], v[12:13]
	v_fma_f64 v[6:7], v[6:7], s[2:3], v[10:11]
	v_add_f64 v[60:61], v[8:9], v[6:7]
	v_add_f64 v[8:9], v[60:61], -v[8:9]
	v_add_f64 v[10:11], v[6:7], -v[8:9]
	s_andn2_saveexec_b64 s[2:3], s[6:7]
	s_cbranch_execz .LBB0_68
	s_branch .LBB0_67
.LBB0_66:
	s_andn2_saveexec_b64 s[2:3], s[6:7]
	s_cbranch_execz .LBB0_68
.LBB0_67:
	buffer_load_dword v8, off, s[96:99], 0 offset:472 ; 4-byte Folded Reload
	buffer_load_dword v9, off, s[96:99], 0 offset:476 ; 4-byte Folded Reload
	s_mov_b32 s6, 0x6dc9c883
	s_mov_b32 s7, 0x3fe45f30
	;; [unrolled: 1-line block ×4, first 2 shown]
	s_waitcnt vmcnt(0)
	v_mul_f64 v[6:7], |v[8:9]|, s[6:7]
	s_mov_b32 s6, 0x54442d18
	s_mov_b32 s7, 0xbff921fb
	v_rndne_f64_e32 v[6:7], v[6:7]
	v_fma_f64 v[8:9], v[6:7], s[6:7], |v[8:9]|
	v_mul_f64 v[10:11], v[6:7], s[12:13]
	s_mov_b32 s6, 0x252049c0
	s_mov_b32 s7, 0xb97b839a
	v_cvt_i32_f64_e32 v0, v[6:7]
	v_add_f64 v[18:19], v[8:9], v[10:11]
	v_add_f64 v[26:27], v[8:9], -v[18:19]
	v_fma_f64 v[8:9], v[6:7], s[12:13], v[8:9]
	s_mov_b32 s13, 0x3c91a626
	v_add_f64 v[26:27], v[26:27], v[10:11]
	v_add_f64 v[18:19], v[18:19], -v[8:9]
	v_fma_f64 v[10:11], v[6:7], s[12:13], v[10:11]
	v_add_f64 v[18:19], v[18:19], v[26:27]
	v_add_f64 v[10:11], v[18:19], -v[10:11]
	v_fma_f64 v[10:11], v[6:7], s[6:7], v[10:11]
	v_add_f64 v[60:61], v[8:9], v[10:11]
	v_add_f64 v[8:9], v[60:61], -v[8:9]
	v_add_f64 v[10:11], v[10:11], -v[8:9]
.LBB0_68:
	s_or_b64 exec, exec, s[2:3]
                                        ; implicit-def: $vgpr39
                                        ; implicit-def: $vgpr26_vgpr27
                                        ; implicit-def: $vgpr30_vgpr31
	s_and_saveexec_b64 s[2:3], s[10:11]
	s_xor_b64 s[6:7], exec, s[2:3]
	s_cbranch_execz .LBB0_70
; %bb.69:
	buffer_load_dword v12, off, s[96:99], 0 offset:24 ; 4-byte Folded Reload
	buffer_load_dword v13, off, s[96:99], 0 offset:28 ; 4-byte Folded Reload
	s_mov_b32 s2, 0
	s_mov_b32 s3, 0x7b000000
	v_mov_b32_e32 v22, v28
	v_mov_b32_e32 v23, v29
	s_mov_b32 s12, 0x33145c07
	s_mov_b32 s13, 0x3c91a626
	s_waitcnt vmcnt(0)
	v_cmp_ge_f64_e64 vcc, |v[12:13]|, s[2:3]
	s_movk_i32 s2, 0xff80
	v_ldexp_f64 v[6:7], |v[12:13]|, s2
	v_and_b32_e32 v8, 0x7fffffff, v13
	s_mov_b32 s2, 0
	s_mov_b32 s3, 0x7ff00000
	v_cndmask_b32_e32 v9, v8, v7, vcc
	v_cndmask_b32_e32 v8, v12, v6, vcc
	v_mul_f64 v[12:13], v[50:51], v[8:9]
	v_mul_f64 v[6:7], v[32:33], v[8:9]
	v_fma_f64 v[14:15], v[50:51], v[8:9], -v[12:13]
	v_mul_f64 v[50:51], v[22:23], v[8:9]
	v_add_f64 v[18:19], v[6:7], v[14:15]
	v_add_f64 v[46:47], v[18:19], -v[6:7]
	v_add_f64 v[30:31], v[12:13], v[18:19]
	v_add_f64 v[14:15], v[14:15], -v[46:47]
	v_add_f64 v[46:47], v[18:19], -v[46:47]
	v_ldexp_f64 v[26:27], v[30:31], -2
	v_add_f64 v[46:47], v[6:7], -v[46:47]
	v_fract_f64_e32 v[42:43], v[26:27]
	v_cmp_neq_f64_e64 vcc, |v[26:27]|, s[2:3]
	v_add_f64 v[14:15], v[14:15], v[46:47]
	v_fma_f64 v[46:47], v[32:33], v[8:9], -v[6:7]
	v_add_f64 v[6:7], v[30:31], -v[12:13]
	v_fma_f64 v[8:9], v[22:23], v[8:9], -v[50:51]
	v_add_f64 v[20:21], v[50:51], v[46:47]
	v_add_f64 v[12:13], v[18:19], -v[6:7]
	v_add_f64 v[34:35], v[20:21], v[14:15]
	v_add_f64 v[18:19], v[34:35], -v[20:21]
	;; [unrolled: 2-line block ×3, first 2 shown]
	v_add_f64 v[18:19], v[34:35], -v[18:19]
	v_add_f64 v[12:13], v[6:7], -v[12:13]
	;; [unrolled: 1-line block ×4, first 2 shown]
	v_add_f64 v[14:15], v[14:15], v[18:19]
	v_add_f64 v[18:19], v[20:21], -v[50:51]
	v_add_f64 v[30:31], v[46:47], -v[18:19]
	;; [unrolled: 1-line block ×4, first 2 shown]
	buffer_load_dword v50, off, s[96:99], 0 offset:8 ; 4-byte Folded Reload
	buffer_load_dword v51, off, s[96:99], 0 offset:12 ; 4-byte Folded Reload
	v_add_f64 v[18:19], v[30:31], v[18:19]
	v_add_f64 v[14:15], v[18:19], v[14:15]
	;; [unrolled: 1-line block ×4, first 2 shown]
	v_ldexp_f64 v[12:13], v[42:43], 2
	v_cndmask_b32_e32 v13, 0, v13, vcc
	v_cndmask_b32_e32 v12, 0, v12, vcc
	v_add_f64 v[14:15], v[6:7], v[12:13]
	v_cmp_gt_f64_e32 vcc, 0, v[14:15]
	v_mov_b32_e32 v14, 0x40100000
	v_cndmask_b32_e32 v15, 0, v14, vcc
	v_mov_b32_e32 v14, 0
	v_add_f64 v[12:13], v[12:13], v[14:15]
	v_add_f64 v[18:19], v[6:7], v[12:13]
	v_cvt_i32_f64_e32 v15, v[18:19]
	v_cvt_f64_i32_e32 v[18:19], v15
	v_add_f64 v[12:13], v[12:13], -v[18:19]
	v_add_f64 v[18:19], v[6:7], v[12:13]
	v_add_f64 v[12:13], v[18:19], -v[12:13]
	v_cmp_le_f64_e32 vcc, 0.5, v[18:19]
	v_add_f64 v[6:7], v[6:7], -v[12:13]
	v_addc_co_u32_e64 v39, s[2:3], 0, v15, vcc
	s_mov_b32 s2, 0x54442d18
	s_mov_b32 s3, 0x3ff921fb
	v_add_f64 v[6:7], v[8:9], v[6:7]
	v_mov_b32_e32 v8, 0x3ff00000
	v_cndmask_b32_e32 v15, 0, v8, vcc
	v_add_f64 v[8:9], v[18:19], -v[14:15]
	v_add_f64 v[12:13], v[8:9], v[6:7]
	v_add_f64 v[8:9], v[12:13], -v[8:9]
	v_add_f64 v[6:7], v[6:7], -v[8:9]
	v_mul_f64 v[8:9], v[12:13], s[2:3]
	v_fma_f64 v[14:15], v[12:13], s[2:3], -v[8:9]
	v_fma_f64 v[12:13], v[12:13], s[12:13], v[14:15]
	v_fma_f64 v[6:7], v[6:7], s[2:3], v[12:13]
	v_add_f64 v[26:27], v[8:9], v[6:7]
	v_add_f64 v[8:9], v[26:27], -v[8:9]
	v_add_f64 v[30:31], v[6:7], -v[8:9]
	s_andn2_saveexec_b64 s[2:3], s[6:7]
	s_cbranch_execnz .LBB0_71
	s_branch .LBB0_72
.LBB0_70:
	s_andn2_saveexec_b64 s[2:3], s[6:7]
	s_cbranch_execz .LBB0_72
.LBB0_71:
	buffer_load_dword v8, off, s[96:99], 0 offset:24 ; 4-byte Folded Reload
	buffer_load_dword v9, off, s[96:99], 0 offset:28 ; 4-byte Folded Reload
	s_mov_b32 s6, 0x6dc9c883
	s_mov_b32 s7, 0x3fe45f30
	;; [unrolled: 1-line block ×4, first 2 shown]
	s_waitcnt vmcnt(0)
	v_mul_f64 v[6:7], |v[8:9]|, s[6:7]
	s_mov_b32 s6, 0x54442d18
	s_mov_b32 s7, 0xbff921fb
	v_rndne_f64_e32 v[6:7], v[6:7]
	v_fma_f64 v[8:9], v[6:7], s[6:7], |v[8:9]|
	v_mul_f64 v[12:13], v[6:7], s[12:13]
	s_mov_b32 s6, 0x252049c0
	s_mov_b32 s7, 0xb97b839a
	v_cvt_i32_f64_e32 v39, v[6:7]
	v_add_f64 v[14:15], v[8:9], v[12:13]
	v_add_f64 v[18:19], v[8:9], -v[14:15]
	v_fma_f64 v[8:9], v[6:7], s[12:13], v[8:9]
	s_mov_b32 s13, 0x3c91a626
	v_add_f64 v[18:19], v[18:19], v[12:13]
	v_add_f64 v[14:15], v[14:15], -v[8:9]
	v_fma_f64 v[12:13], v[6:7], s[12:13], v[12:13]
	v_add_f64 v[14:15], v[14:15], v[18:19]
	v_add_f64 v[12:13], v[14:15], -v[12:13]
	v_fma_f64 v[12:13], v[6:7], s[6:7], v[12:13]
	v_add_f64 v[26:27], v[8:9], v[12:13]
	v_add_f64 v[8:9], v[26:27], -v[8:9]
	v_add_f64 v[30:31], v[12:13], -v[8:9]
.LBB0_72:
	s_or_b64 exec, exec, s[2:3]
	s_load_dwordx2 s[38:39], s[4:5], 0x0
                                        ; implicit-def: $vgpr6
                                        ; kill: killed $vgpr6
                                        ; implicit-def: $vgpr6_vgpr7
                                        ; implicit-def: $vgpr8_vgpr9
                                        ; kill: killed $vgpr8_vgpr9
	s_and_saveexec_b64 s[2:3], s[10:11]
	s_xor_b64 s[4:5], exec, s[2:3]
	s_cbranch_execz .LBB0_74
; %bb.73:
	buffer_load_dword v12, off, s[96:99], 0 offset:24 ; 4-byte Folded Reload
	buffer_load_dword v13, off, s[96:99], 0 offset:28 ; 4-byte Folded Reload
	s_mov_b32 s2, 0
	s_mov_b32 s3, 0x7b000000
	;; [unrolled: 1-line block ×4, first 2 shown]
	s_waitcnt vmcnt(0)
	v_cmp_ge_f64_e64 vcc, |v[12:13]|, s[2:3]
	s_movk_i32 s2, 0xff80
	v_ldexp_f64 v[6:7], |v[12:13]|, s2
	v_and_b32_e32 v8, 0x7fffffff, v13
	s_mov_b32 s2, 0
	s_mov_b32 s3, 0x7ff00000
	v_cndmask_b32_e32 v9, v8, v7, vcc
	v_cndmask_b32_e32 v8, v12, v6, vcc
	v_mul_f64 v[12:13], v[50:51], v[8:9]
	v_mul_f64 v[6:7], v[32:33], v[8:9]
	v_fma_f64 v[14:15], v[50:51], v[8:9], -v[12:13]
	v_add_f64 v[18:19], v[6:7], v[14:15]
	v_add_f64 v[46:47], v[18:19], -v[6:7]
	v_add_f64 v[34:35], v[12:13], v[18:19]
	v_add_f64 v[14:15], v[14:15], -v[46:47]
	v_add_f64 v[46:47], v[18:19], -v[46:47]
	v_ldexp_f64 v[20:21], v[34:35], -2
	v_add_f64 v[46:47], v[6:7], -v[46:47]
	v_fract_f64_e32 v[42:43], v[20:21]
	v_cmp_neq_f64_e64 vcc, |v[20:21]|, s[2:3]
	v_add_f64 v[14:15], v[14:15], v[46:47]
	v_fma_f64 v[46:47], v[32:33], v[8:9], -v[6:7]
	v_mov_b32_e32 v32, v36
	v_mov_b32_e32 v33, v37
	;; [unrolled: 1-line block ×4, first 2 shown]
	v_mul_f64 v[50:51], v[36:37], v[8:9]
	v_add_f64 v[6:7], v[34:35], -v[12:13]
	v_add_f64 v[22:23], v[50:51], v[46:47]
	v_add_f64 v[12:13], v[18:19], -v[6:7]
	v_fma_f64 v[8:9], v[36:37], v[8:9], -v[50:51]
	v_mov_b32_e32 v37, v33
	v_mov_b32_e32 v36, v32
	v_add_f64 v[28:29], v[22:23], v[14:15]
	v_add_f64 v[18:19], v[28:29], -v[22:23]
	v_add_f64 v[6:7], v[12:13], v[28:29]
	v_add_f64 v[14:15], v[14:15], -v[18:19]
	v_add_f64 v[18:19], v[28:29], -v[18:19]
	;; [unrolled: 1-line block ×5, first 2 shown]
	v_add_f64 v[14:15], v[14:15], v[18:19]
	v_add_f64 v[18:19], v[22:23], -v[50:51]
	v_add_f64 v[28:29], v[46:47], -v[18:19]
	;; [unrolled: 1-line block ×4, first 2 shown]
	v_add_f64 v[18:19], v[28:29], v[18:19]
	v_add_f64 v[14:15], v[18:19], v[14:15]
	;; [unrolled: 1-line block ×4, first 2 shown]
	v_ldexp_f64 v[12:13], v[42:43], 2
	v_cndmask_b32_e32 v13, 0, v13, vcc
	v_cndmask_b32_e32 v12, 0, v12, vcc
	v_add_f64 v[14:15], v[6:7], v[12:13]
	v_cmp_gt_f64_e32 vcc, 0, v[14:15]
	v_mov_b32_e32 v14, 0x40100000
	v_cndmask_b32_e32 v15, 0, v14, vcc
	v_mov_b32_e32 v14, 0
	v_add_f64 v[12:13], v[12:13], v[14:15]
	v_add_f64 v[18:19], v[6:7], v[12:13]
	v_cvt_i32_f64_e32 v15, v[18:19]
	v_cvt_f64_i32_e32 v[18:19], v15
	v_add_f64 v[12:13], v[12:13], -v[18:19]
	v_add_f64 v[18:19], v[6:7], v[12:13]
	v_add_f64 v[12:13], v[18:19], -v[12:13]
	v_cmp_le_f64_e32 vcc, 0.5, v[18:19]
	v_add_f64 v[6:7], v[6:7], -v[12:13]
	v_add_f64 v[6:7], v[8:9], v[6:7]
	v_addc_co_u32_e64 v8, s[2:3], 0, v15, vcc
	buffer_store_dword v8, off, s[96:99], 0 offset:8 ; 4-byte Folded Spill
	v_mov_b32_e32 v8, 0x3ff00000
	v_cndmask_b32_e32 v15, 0, v8, vcc
	v_add_f64 v[8:9], v[18:19], -v[14:15]
	s_mov_b32 s2, 0x54442d18
	s_mov_b32 s3, 0x3ff921fb
	v_add_f64 v[12:13], v[8:9], v[6:7]
	v_add_f64 v[8:9], v[12:13], -v[8:9]
	v_add_f64 v[6:7], v[6:7], -v[8:9]
	v_mul_f64 v[8:9], v[12:13], s[2:3]
	v_fma_f64 v[14:15], v[12:13], s[2:3], -v[8:9]
	v_fma_f64 v[12:13], v[12:13], s[10:11], v[14:15]
	v_fma_f64 v[12:13], v[6:7], s[2:3], v[12:13]
	v_add_f64 v[6:7], v[8:9], v[12:13]
	v_add_f64 v[8:9], v[6:7], -v[8:9]
	v_add_f64 v[8:9], v[12:13], -v[8:9]
	buffer_store_dword v8, off, s[96:99], 0 offset:40 ; 4-byte Folded Spill
	s_nop 0
	buffer_store_dword v9, off, s[96:99], 0 offset:44 ; 4-byte Folded Spill
.LBB0_74:
	s_or_saveexec_b64 s[2:3], s[4:5]
	v_mul_f64 v[8:9], s[8:9], s[8:9]
	buffer_store_dword v8, off, s[96:99], 0 offset:56 ; 4-byte Folded Spill
	s_nop 0
	buffer_store_dword v9, off, s[96:99], 0 offset:60 ; 4-byte Folded Spill
	s_xor_b64 exec, exec, s[2:3]
	s_cbranch_execz .LBB0_76
; %bb.75:
	buffer_load_dword v12, off, s[96:99], 0 offset:24 ; 4-byte Folded Reload
	buffer_load_dword v13, off, s[96:99], 0 offset:28 ; 4-byte Folded Reload
	s_mov_b32 s4, 0x6dc9c883
	s_mov_b32 s5, 0x3fe45f30
	;; [unrolled: 1-line block ×4, first 2 shown]
	s_waitcnt vmcnt(0)
	v_mul_f64 v[6:7], |v[12:13]|, s[4:5]
	s_mov_b32 s4, 0x54442d18
	s_mov_b32 s5, 0xbff921fb
	v_rndne_f64_e32 v[8:9], v[6:7]
	v_fma_f64 v[6:7], v[8:9], s[4:5], |v[12:13]|
	v_mul_f64 v[12:13], v[8:9], s[10:11]
	s_mov_b32 s4, 0x252049c0
	s_mov_b32 s5, 0xb97b839a
	v_fma_f64 v[20:21], v[8:9], s[10:11], v[6:7]
	v_add_f64 v[14:15], v[6:7], v[12:13]
	s_mov_b32 s11, 0x3c91a626
	v_add_f64 v[18:19], v[6:7], -v[14:15]
	v_add_f64 v[14:15], v[14:15], -v[20:21]
	v_add_f64 v[6:7], v[18:19], v[12:13]
	v_fma_f64 v[12:13], v[8:9], s[10:11], v[12:13]
	v_add_f64 v[6:7], v[14:15], v[6:7]
	v_add_f64 v[6:7], v[6:7], -v[12:13]
	v_fma_f64 v[12:13], v[8:9], s[4:5], v[6:7]
	v_cvt_i32_f64_e32 v8, v[8:9]
	v_add_f64 v[6:7], v[20:21], v[12:13]
	v_add_f64 v[14:15], v[6:7], -v[20:21]
	v_add_f64 v[12:13], v[12:13], -v[14:15]
	buffer_store_dword v12, off, s[96:99], 0 offset:40 ; 4-byte Folded Spill
	s_nop 0
	buffer_store_dword v13, off, s[96:99], 0 offset:44 ; 4-byte Folded Spill
	buffer_store_dword v8, off, s[96:99], 0 offset:8 ; 4-byte Folded Spill
.LBB0_76:
	s_or_b64 exec, exec, s[2:3]
	v_mul_f64 v[8:9], v[24:25], v[24:25]
	s_mov_b32 s2, 0x9037ab78
	s_mov_b32 s3, 0x3e21eeb6
	;; [unrolled: 1-line block ×7, first 2 shown]
	v_mul_f64 v[12:13], v[8:9], 0.5
	s_mov_b32 s15, 0x3efa01a0
	s_mov_b32 s16, 0x16c16967
	;; [unrolled: 1-line block ×5, first 2 shown]
	v_mul_f64 v[20:21], v[8:9], v[8:9]
	s_mov_b32 s22, 0xf9a43bb8
	v_add_f64 v[18:19], -v[12:13], 1.0
	s_mov_b32 s23, 0x3de5e0b2
	s_mov_b32 s24, 0x796cde01
	;; [unrolled: 1-line block ×7, first 2 shown]
	v_add_f64 v[14:15], -v[18:19], 1.0
	v_mul_f64 v[28:29], v[58:59], 0.5
	s_mov_b32 s31, 0xbfc55555
	s_mov_b32 s30, s18
	buffer_load_dword v34, off, s[96:99], 0 offset:472 ; 4-byte Folded Reload
	buffer_load_dword v35, off, s[96:99], 0 offset:476 ; 4-byte Folded Reload
	s_movk_i32 s60, 0x1f8
	s_brev_b32 s20, -2
	s_mov_b32 s6, 0
	v_add_f64 v[12:13], v[14:15], -v[12:13]
	v_mov_b32_e32 v15, s3
	v_mov_b32_e32 v14, s2
	v_fma_f64 v[22:23], v[8:9], s[10:11], v[14:15]
	s_mov_b32 s2, 0xb42fdfa7
	s_mov_b32 s3, 0xbe5ae600
	s_brev_b32 s7, 8
	s_mov_b32 s41, 0x3fe55555
	v_fma_f64 v[12:13], v[24:25], -v[58:59], v[12:13]
	s_mov_b32 s40, s18
	s_mov_b32 s84, 0x4222de17
	v_fma_f64 v[22:23], v[8:9], v[22:23], s[12:13]
	s_mov_b32 s85, 0x3fbdee67
	s_mov_b32 s44, 0x3abe935a
	s_mov_b32 s45, 0x3fbe25e4
	s_mov_b32 s46, 0x47e6c9c2
	s_mov_b32 s47, 0x3fc110ef
	s_mov_b32 s48, 0xcfa74449
	s_mov_b32 s49, 0x3fc3b13b
	v_fma_f64 v[22:23], v[8:9], v[22:23], s[14:15]
	s_mov_b32 s50, 0x71bf3c30
	s_mov_b32 s51, 0x3fc745d1
	s_mov_b32 s52, 0x1c7792ce
	s_mov_b32 s53, 0x3fcc71c7
	s_mov_b32 s54, 0x924920da
	;; [unrolled: 8-line block ×3, first 2 shown]
	s_mov_b32 s65, 0xbfe55555
	s_mov_b32 s64, s18
	v_fma_f64 v[22:23], v[8:9], v[22:23], s[18:19]
	s_mov_b32 s66, 0xd5df274d
	s_mov_b32 s67, 0x3c8543b0
	;; [unrolled: 1-line block ×3, first 2 shown]
	s_movk_i32 s61, 0x204
	s_mov_b32 s68, 0
	s_mov_b32 s69, 0x7ff00000
	;; [unrolled: 1-line block ×3, first 2 shown]
	v_fma_f64 v[12:13], v[20:21], v[22:23], v[12:13]
	v_mul_f64 v[22:23], v[24:25], -v[8:9]
	s_mov_b32 s71, 0x3ff71547
	s_mov_b32 s73, 0xbfe62e42
	;; [unrolled: 1-line block ×6, first 2 shown]
	v_add_f64 v[18:19], v[18:19], v[12:13]
	v_mov_b32_e32 v13, s3
	v_mov_b32_e32 v12, s2
	v_fma_f64 v[20:21], v[8:9], s[22:23], v[12:13]
	s_mov_b32 s2, 0
	s_brev_b32 s3, 8
	s_mov_b32 s77, 0x3e5ade15
	s_mov_b32 s78, 0x623fde64
	;; [unrolled: 1-line block ×5, first 2 shown]
	v_fma_f64 v[20:21], v[8:9], v[20:21], s[24:25]
	s_mov_b32 s82, 0x14761f6e
	s_mov_b32 s83, 0x3f2a01a0
	;; [unrolled: 1-line block ×7, first 2 shown]
	v_fma_f64 v[20:21], v[8:9], v[20:21], s[26:27]
	s_mov_b32 s91, s19
	s_mov_b32 s92, 0x55555511
	s_mov_b32 s93, 0x3fc55555
	s_mov_b32 s94, 11
	s_mov_b32 s95, 0x3fe00000
	s_waitcnt vmcnt(0)
	v_cmp_class_f64_e64 s[4:5], v[34:35], s60
	s_mov_b32 s42, 0
	v_fma_f64 v[20:21], v[8:9], v[20:21], s[28:29]
	s_mov_b32 s43, 0x40900000
                                        ; implicit-def: $vgpr63 : SGPR spill to VGPR lane
	s_movk_i32 s33, 0xff80
	v_fma_f64 v[20:21], v[22:23], v[20:21], v[28:29]
	v_fma_f64 v[8:9], v[8:9], v[20:21], -v[58:59]
	v_and_b32_e32 v20, 1, v38
	v_cmp_eq_u32_e32 vcc, 0, v20
	v_fma_f64 v[8:9], v[22:23], s[30:31], v[8:9]
	v_add_f64 v[8:9], v[24:25], -v[8:9]
	v_cndmask_b32_e32 v8, v18, v8, vcc
	v_lshlrev_b32_e32 v18, 30, v38
	v_xor_b32_e32 v18, v18, v1
	v_cndmask_b32_e32 v9, v19, v9, vcc
	v_and_b32_e32 v18, 0x80000000, v18
	v_xor_b32_e32 v9, v9, v18
	buffer_load_dword v18, off, s[96:99], 0 ; 4-byte Folded Reload
	buffer_load_dword v19, off, s[96:99], 0 offset:4 ; 4-byte Folded Reload
	v_mov_b32_e32 v38, 0x7ff80000
	v_cndmask_b32_e64 v8, 0, v8, s[0:1]
	v_cndmask_b32_e64 v9, v38, v9, s[0:1]
	s_waitcnt vmcnt(0)
	v_bfi_b32 v35, s20, v35, v19
	v_mul_f64 v[18:19], v[60:61], v[60:61]
	buffer_store_dword v34, off, s[96:99], 0 offset:472 ; 4-byte Folded Spill
	s_nop 0
	buffer_store_dword v35, off, s[96:99], 0 offset:476 ; 4-byte Folded Spill
	buffer_load_dword v46, off, s[96:99], 0 offset:32 ; 4-byte Folded Reload
	buffer_load_dword v47, off, s[96:99], 0 offset:36 ; 4-byte Folded Reload
	v_mov_b32_e32 v34, 0x260
	v_mul_f64 v[20:21], v[18:19], 0.5
	v_fma_f64 v[28:29], v[18:19], s[10:11], v[14:15]
	v_add_f64 v[22:23], -v[20:21], 1.0
	v_fma_f64 v[28:29], v[18:19], v[28:29], s[12:13]
	v_add_f64 v[24:25], -v[22:23], 1.0
	v_fma_f64 v[28:29], v[18:19], v[28:29], s[14:15]
	v_add_f64 v[20:21], v[24:25], -v[20:21]
	v_fma_f64 v[28:29], v[18:19], v[28:29], s[16:17]
	v_mul_f64 v[24:25], v[18:19], v[18:19]
	v_fma_f64 v[20:21], v[60:61], -v[10:11], v[20:21]
	v_fma_f64 v[28:29], v[18:19], v[28:29], s[18:19]
	v_fma_f64 v[20:21], v[24:25], v[28:29], v[20:21]
	v_mul_f64 v[24:25], v[60:61], -v[18:19]
	v_mul_f64 v[28:29], v[10:11], 0.5
	v_add_f64 v[20:21], v[22:23], v[20:21]
	v_fma_f64 v[22:23], v[18:19], s[22:23], v[12:13]
	v_fma_f64 v[22:23], v[18:19], v[22:23], s[24:25]
	v_fma_f64 v[22:23], v[18:19], v[22:23], s[26:27]
	v_fma_f64 v[22:23], v[18:19], v[22:23], s[28:29]
	v_fma_f64 v[22:23], v[24:25], v[22:23], v[28:29]
	v_fma_f64 v[10:11], v[18:19], v[22:23], -v[10:11]
	v_and_b32_e32 v18, 1, v0
	v_lshlrev_b32_e32 v0, 30, v0
	v_cmp_eq_u32_e32 vcc, 0, v18
	v_xor_b32_e32 v0, v0, v35
	v_and_b32_e32 v0, 0x80000000, v0
	v_fma_f64 v[10:11], v[24:25], s[30:31], v[10:11]
	v_add_f64 v[10:11], v[60:61], -v[10:11]
	buffer_load_dword v60, off, s[96:99], 0 offset:56 ; 4-byte Folded Reload
	buffer_load_dword v61, off, s[96:99], 0 offset:60 ; 4-byte Folded Reload
	;; [unrolled: 1-line block ×4, first 2 shown]
	v_cndmask_b32_e32 v11, v21, v11, vcc
	v_cndmask_b32_e32 v10, v20, v10, vcc
	v_xor_b32_e32 v0, v11, v0
	v_cndmask_b32_e64 v10, 0, v10, s[4:5]
	v_cndmask_b32_e64 v11, v38, v0, s[4:5]
	v_mul_f64 v[8:9], -v[8:9], v[10:11]
	v_mov_b32_e32 v0, 0x100
	s_waitcnt vmcnt(4)
	v_mul_f64 v[20:21], v[46:47], v[46:47]
	s_waitcnt vmcnt(2)
	v_fma_f64 v[10:11], v[46:47], v[46:47], v[60:61]
	v_cmp_gt_f64_e32 vcc, s[2:3], v[10:11]
	s_waitcnt vmcnt(0)
	v_cmp_class_f64_e64 s[2:3], v[50:51], s60
	v_cndmask_b32_e32 v0, 0, v0, vcc
	v_ldexp_f64 v[10:11], v[10:11], v0
	v_mov_b32_e32 v0, 0xffffff80
	v_cndmask_b32_e32 v0, 0, v0, vcc
	v_rsq_f64_e32 v[18:19], v[10:11]
	v_mul_f64 v[22:23], v[10:11], v[18:19]
	v_mul_f64 v[18:19], v[18:19], 0.5
	v_fma_f64 v[24:25], -v[18:19], v[22:23], 0.5
	v_fma_f64 v[22:23], v[22:23], v[24:25], v[22:23]
	v_fma_f64 v[18:19], v[18:19], v[24:25], v[18:19]
	v_fma_f64 v[28:29], -v[22:23], v[22:23], v[10:11]
	v_fma_f64 v[22:23], v[28:29], v[18:19], v[22:23]
	v_fma_f64 v[24:25], -v[22:23], v[22:23], v[10:11]
	v_fma_f64 v[18:19], v[24:25], v[18:19], v[22:23]
	v_ldexp_f64 v[18:19], v[18:19], v0
	v_mov_b32_e32 v0, 0x260
	v_cmp_class_f64_e32 vcc, v[10:11], v0
	v_and_b32_e32 v0, 1, v39
	v_cndmask_b32_e32 v59, v19, v11, vcc
	v_cndmask_b32_e32 v58, v18, v10, vcc
	v_mul_f64 v[10:11], v[26:27], v[26:27]
	v_cmp_eq_u32_e32 vcc, 0, v0
	v_mul_f64 v[18:19], v[10:11], 0.5
	v_fma_f64 v[28:29], v[10:11], s[10:11], v[14:15]
	v_add_f64 v[22:23], -v[18:19], 1.0
	v_fma_f64 v[28:29], v[10:11], v[28:29], s[12:13]
	v_add_f64 v[24:25], -v[22:23], 1.0
	v_fma_f64 v[28:29], v[10:11], v[28:29], s[14:15]
	v_add_f64 v[18:19], v[24:25], -v[18:19]
	v_fma_f64 v[28:29], v[10:11], v[28:29], s[16:17]
	v_mul_f64 v[24:25], v[10:11], v[10:11]
	v_fma_f64 v[18:19], v[26:27], -v[30:31], v[18:19]
	v_fma_f64 v[28:29], v[10:11], v[28:29], s[18:19]
	v_fma_f64 v[18:19], v[24:25], v[28:29], v[18:19]
	v_mul_f64 v[24:25], v[26:27], -v[10:11]
	v_mul_f64 v[28:29], v[30:31], 0.5
	v_add_f64 v[18:19], v[22:23], v[18:19]
	v_fma_f64 v[22:23], v[10:11], s[22:23], v[12:13]
	v_fma_f64 v[22:23], v[10:11], v[22:23], s[24:25]
	;; [unrolled: 1-line block ×5, first 2 shown]
	buffer_load_dword v28, off, s[96:99], 0 offset:136 ; 4-byte Folded Reload
	buffer_load_dword v29, off, s[96:99], 0 offset:140 ; 4-byte Folded Reload
	v_fma_f64 v[10:11], v[10:11], v[22:23], -v[30:31]
	buffer_load_dword v30, off, s[96:99], 0 offset:144 ; 4-byte Folded Reload
	buffer_load_dword v31, off, s[96:99], 0 offset:148 ; 4-byte Folded Reload
	v_fma_f64 v[10:11], v[24:25], s[30:31], v[10:11]
	v_add_f64 v[10:11], v[26:27], -v[10:11]
	v_cndmask_b32_e32 v0, v18, v10, vcc
	v_cndmask_b32_e32 v10, v19, v11, vcc
	v_lshlrev_b32_e32 v11, 30, v39
	v_xor_b32_e32 v11, v11, v51
	v_and_b32_e32 v11, 0x80000000, v11
	v_xor_b32_e32 v11, v10, v11
	v_cndmask_b32_e64 v10, 0, v0, s[2:3]
	v_cndmask_b32_e64 v11, v38, v11, s[2:3]
	v_mul_f64 v[10:11], v[58:59], v[10:11]
	v_div_scale_f64 v[18:19], s[34:35], v[10:11], v[10:11], v[8:9]
	v_rcp_f64_e32 v[22:23], v[18:19]
	v_fma_f64 v[24:25], -v[18:19], v[22:23], 1.0
	v_fma_f64 v[22:23], v[22:23], v[24:25], v[22:23]
	v_fma_f64 v[24:25], -v[18:19], v[22:23], 1.0
	v_fma_f64 v[22:23], v[22:23], v[24:25], v[22:23]
	v_div_scale_f64 v[24:25], vcc, v[8:9], v[10:11], v[8:9]
	v_mul_f64 v[26:27], v[24:25], v[22:23]
	v_fma_f64 v[18:19], -v[18:19], v[26:27], v[24:25]
	s_nop 1
	v_div_fmas_f64 v[18:19], v[18:19], v[22:23], v[26:27]
	v_div_fixup_f64 v[24:25], v[18:19], v[10:11], v[8:9]
	v_mul_f64 v[8:9], v[4:5], v[4:5]
	v_mul_f64 v[10:11], v[8:9], 0.5
	v_fma_f64 v[26:27], v[8:9], s[10:11], v[14:15]
	v_add_f64 v[18:19], -v[10:11], 1.0
	v_fma_f64 v[26:27], v[8:9], v[26:27], s[12:13]
	v_add_f64 v[22:23], -v[18:19], 1.0
	v_fma_f64 v[26:27], v[8:9], v[26:27], s[14:15]
	v_add_f64 v[10:11], v[22:23], -v[10:11]
	v_fma_f64 v[26:27], v[8:9], v[26:27], s[16:17]
	v_mul_f64 v[22:23], v[8:9], v[8:9]
	v_fma_f64 v[10:11], v[4:5], -v[52:53], v[10:11]
	v_fma_f64 v[26:27], v[8:9], v[26:27], s[18:19]
	v_fma_f64 v[10:11], v[22:23], v[26:27], v[10:11]
	v_mul_f64 v[22:23], v[4:5], -v[8:9]
	v_mul_f64 v[26:27], v[52:53], 0.5
	v_add_f64 v[10:11], v[18:19], v[10:11]
	v_fma_f64 v[18:19], v[8:9], s[22:23], v[12:13]
	v_fma_f64 v[18:19], v[8:9], v[18:19], s[24:25]
	;; [unrolled: 1-line block ×5, first 2 shown]
	v_fma_f64 v[8:9], v[8:9], v[18:19], -v[52:53]
	v_fma_f64 v[8:9], v[22:23], s[30:31], v[8:9]
	v_add_f64 v[4:5], v[4:5], -v[8:9]
	v_xor_b32_e32 v0, 0x80000000, v5
	v_and_b32_e32 v5, 1, v62
	v_cmp_eq_u32_e32 vcc, 0, v5
	v_lshlrev_b32_e32 v5, 30, v62
	v_cndmask_b32_e32 v0, v0, v11, vcc
	v_and_b32_e32 v5, 0x80000000, v5
	v_cndmask_b32_e32 v4, v4, v10, vcc
	v_mov_b32_e32 v62, 0x7ff80000
	v_xor_b32_e32 v0, v0, v5
	v_cndmask_b32_e64 v4, 0, v4, s[0:1]
	v_cndmask_b32_e64 v5, v62, v0, s[0:1]
	v_mul_f64 v[10:11], v[46:47], v[4:5]
	s_waitcnt vmcnt(2)
	v_mul_f64 v[4:5], v[28:29], v[28:29]
	v_mul_f64 v[8:9], v[4:5], 0.5
	v_fma_f64 v[26:27], v[4:5], s[10:11], v[14:15]
	v_add_f64 v[18:19], -v[8:9], 1.0
	v_fma_f64 v[26:27], v[4:5], v[26:27], s[12:13]
	v_add_f64 v[22:23], -v[18:19], 1.0
	v_fma_f64 v[26:27], v[4:5], v[26:27], s[14:15]
	v_add_f64 v[8:9], v[22:23], -v[8:9]
	v_fma_f64 v[26:27], v[4:5], v[26:27], s[16:17]
	v_mul_f64 v[22:23], v[4:5], v[4:5]
	s_waitcnt vmcnt(0)
	v_fma_f64 v[8:9], v[28:29], -v[30:31], v[8:9]
	v_fma_f64 v[26:27], v[4:5], v[26:27], s[18:19]
	v_fma_f64 v[8:9], v[22:23], v[26:27], v[8:9]
	v_mul_f64 v[22:23], v[28:29], -v[4:5]
	v_mul_f64 v[26:27], v[30:31], 0.5
	v_add_f64 v[8:9], v[18:19], v[8:9]
	v_fma_f64 v[18:19], v[4:5], s[22:23], v[12:13]
	v_fma_f64 v[18:19], v[4:5], v[18:19], s[24:25]
	;; [unrolled: 1-line block ×5, first 2 shown]
	v_fma_f64 v[4:5], v[4:5], v[18:19], -v[30:31]
	buffer_load_dword v18, off, s[96:99], 0 offset:120 ; 4-byte Folded Reload
	v_fma_f64 v[4:5], v[22:23], s[30:31], v[4:5]
	v_add_f64 v[4:5], v[28:29], -v[4:5]
	buffer_load_dword v28, off, s[96:99], 0 offset:192 ; 4-byte Folded Reload
	buffer_load_dword v29, off, s[96:99], 0 offset:196 ; 4-byte Folded Reload
	s_waitcnt vmcnt(2)
	v_and_b32_e32 v0, 1, v18
	v_cmp_eq_u32_e32 vcc, 0, v0
	v_cndmask_b32_e32 v0, v8, v4, vcc
	v_cndmask_b32_e32 v4, v9, v5, vcc
	v_lshlrev_b32_e32 v5, 30, v18
	v_xor_b32_e32 v1, v5, v1
	v_and_b32_e32 v1, 0x80000000, v1
	v_xor_b32_e32 v1, v4, v1
	v_mul_f64 v[4:5], v[44:45], v[44:45]
	v_cndmask_b32_e64 v0, 0, v0, s[0:1]
	v_cndmask_b32_e64 v1, v62, v1, s[0:1]
	v_mul_f64 v[8:9], v[4:5], 0.5
	v_fma_f64 v[26:27], v[4:5], s[10:11], v[14:15]
	v_add_f64 v[18:19], -v[8:9], 1.0
	v_fma_f64 v[26:27], v[4:5], v[26:27], s[12:13]
	v_add_f64 v[22:23], -v[18:19], 1.0
	v_fma_f64 v[26:27], v[4:5], v[26:27], s[14:15]
	v_add_f64 v[8:9], v[22:23], -v[8:9]
	v_fma_f64 v[26:27], v[4:5], v[26:27], s[16:17]
	v_mul_f64 v[22:23], v[4:5], v[4:5]
	s_waitcnt vmcnt(0)
	v_fma_f64 v[8:9], v[44:45], -v[28:29], v[8:9]
	v_fma_f64 v[26:27], v[4:5], v[26:27], s[18:19]
	v_fma_f64 v[8:9], v[22:23], v[26:27], v[8:9]
	v_mul_f64 v[22:23], v[44:45], -v[4:5]
	v_mul_f64 v[26:27], v[28:29], 0.5
	v_add_f64 v[8:9], v[18:19], v[8:9]
	v_fma_f64 v[18:19], v[4:5], s[22:23], v[12:13]
	v_fma_f64 v[18:19], v[4:5], v[18:19], s[24:25]
	v_fma_f64 v[18:19], v[4:5], v[18:19], s[26:27]
	v_fma_f64 v[18:19], v[4:5], v[18:19], s[28:29]
	v_fma_f64 v[18:19], v[22:23], v[18:19], v[26:27]
	v_fma_f64 v[4:5], v[4:5], v[18:19], -v[28:29]
	buffer_load_dword v19, off, s[96:99], 0 offset:176 ; 4-byte Folded Reload
	v_fma_f64 v[4:5], v[22:23], s[30:31], v[4:5]
	v_add_f64 v[4:5], v[44:45], -v[4:5]
	v_xor_b32_e32 v5, 0x80000000, v5
	s_waitcnt vmcnt(0)
	v_and_b32_e32 v18, 1, v19
	v_cmp_eq_u32_e32 vcc, 0, v18
	v_cndmask_b32_e32 v4, v4, v8, vcc
	v_lshlrev_b32_e32 v8, 30, v19
	v_cndmask_b32_e32 v5, v5, v9, vcc
	v_and_b32_e32 v8, 0x80000000, v8
	v_xor_b32_e32 v5, v5, v8
	v_cndmask_b32_e64 v4, 0, v4, s[4:5]
	v_cndmask_b32_e64 v5, v62, v5, s[4:5]
	v_mul_f64 v[4:5], -v[0:1], v[4:5]
	v_mul_f64 v[0:1], v[54:55], v[54:55]
	v_mul_f64 v[30:31], v[58:59], v[4:5]
	v_mul_f64 v[8:9], v[0:1], 0.5
	v_fma_f64 v[26:27], v[0:1], s[10:11], v[14:15]
	v_add_f64 v[18:19], -v[8:9], 1.0
	v_fma_f64 v[26:27], v[0:1], v[26:27], s[12:13]
	v_add_f64 v[22:23], -v[18:19], 1.0
	v_fma_f64 v[26:27], v[0:1], v[26:27], s[14:15]
	v_add_f64 v[8:9], v[22:23], -v[8:9]
	v_fma_f64 v[26:27], v[0:1], v[26:27], s[16:17]
	v_mul_f64 v[22:23], v[0:1], v[0:1]
	v_fma_f64 v[8:9], v[54:55], -v[56:57], v[8:9]
	v_fma_f64 v[26:27], v[0:1], v[26:27], s[18:19]
	v_fma_f64 v[8:9], v[22:23], v[26:27], v[8:9]
	v_mul_f64 v[22:23], v[54:55], -v[0:1]
	v_mul_f64 v[26:27], v[56:57], 0.5
	v_add_f64 v[8:9], v[18:19], v[8:9]
	v_fma_f64 v[18:19], v[0:1], s[22:23], v[12:13]
	v_fma_f64 v[18:19], v[0:1], v[18:19], s[24:25]
	;; [unrolled: 1-line block ×5, first 2 shown]
	v_fma_f64 v[0:1], v[0:1], v[18:19], -v[56:57]
	buffer_load_dword v19, off, s[96:99], 0 offset:216 ; 4-byte Folded Reload
	buffer_load_dword v32, off, s[96:99], 0 offset:64 ; 4-byte Folded Reload
	;; [unrolled: 1-line block ×5, first 2 shown]
	v_fma_f64 v[0:1], v[22:23], s[30:31], v[0:1]
	v_add_f64 v[0:1], v[54:55], -v[0:1]
	s_waitcnt vmcnt(4)
	v_and_b32_e32 v18, 1, v19
	v_cmp_eq_u32_e32 vcc, 0, v18
	v_cndmask_b32_e32 v0, v8, v0, vcc
	v_lshlrev_b32_e32 v8, 30, v19
	v_xor_b32_e32 v8, v8, v51
	v_cndmask_b32_e32 v1, v9, v1, vcc
	v_and_b32_e32 v8, 0x80000000, v8
	v_xor_b32_e32 v1, v1, v8
	v_cndmask_b32_e64 v26, 0, v0, s[2:3]
	v_cndmask_b32_e64 v27, v62, v1, s[2:3]
	s_waitcnt vmcnt(2)
	v_mul_f64 v[0:1], v[32:33], v[32:33]
	v_mul_f64 v[8:9], v[0:1], 0.5
	v_fma_f64 v[28:29], v[0:1], s[10:11], v[14:15]
	v_add_f64 v[18:19], -v[8:9], 1.0
	v_fma_f64 v[28:29], v[0:1], v[28:29], s[12:13]
	v_add_f64 v[22:23], -v[18:19], 1.0
	v_fma_f64 v[28:29], v[0:1], v[28:29], s[14:15]
	v_add_f64 v[8:9], v[22:23], -v[8:9]
	v_fma_f64 v[28:29], v[0:1], v[28:29], s[16:17]
	v_mul_f64 v[22:23], v[0:1], v[0:1]
	s_waitcnt vmcnt(0)
	v_fma_f64 v[8:9], v[32:33], -v[38:39], v[8:9]
	v_fma_f64 v[28:29], v[0:1], v[28:29], s[18:19]
	v_fma_f64 v[8:9], v[22:23], v[28:29], v[8:9]
	v_mul_f64 v[22:23], v[32:33], -v[0:1]
	v_mul_f64 v[28:29], v[38:39], 0.5
	v_add_f64 v[8:9], v[18:19], v[8:9]
	v_fma_f64 v[18:19], v[0:1], s[22:23], v[12:13]
	v_fma_f64 v[18:19], v[0:1], v[18:19], s[24:25]
	;; [unrolled: 1-line block ×5, first 2 shown]
	v_fma_f64 v[0:1], v[0:1], v[18:19], -v[38:39]
	buffer_load_dword v19, off, s[96:99], 0 offset:48 ; 4-byte Folded Reload
	buffer_load_dword v38, off, s[96:99], 0 offset:104 ; 4-byte Folded Reload
	;; [unrolled: 1-line block ×5, first 2 shown]
	v_fma_f64 v[0:1], v[22:23], s[30:31], v[0:1]
	v_add_f64 v[0:1], v[32:33], -v[0:1]
	v_xor_b32_e32 v1, 0x80000000, v1
	s_waitcnt vmcnt(4)
	v_and_b32_e32 v18, 1, v19
	v_cmp_eq_u32_e32 vcc, 0, v18
	v_cndmask_b32_e32 v0, v0, v8, vcc
	v_lshlrev_b32_e32 v8, 30, v19
	v_cndmask_b32_e32 v1, v1, v9, vcc
	v_and_b32_e32 v8, 0x80000000, v8
	v_xor_b32_e32 v1, v1, v8
	s_waitcnt vmcnt(2)
	v_mul_f64 v[8:9], v[38:39], v[38:39]
	v_cndmask_b32_e64 v0, 0, v0, s[2:3]
	v_cndmask_b32_e64 v1, v62, v1, s[2:3]
	v_mul_f64 v[0:1], s[8:9], v[0:1]
	v_mul_f64 v[18:19], v[8:9], 0.5
	v_fma_f64 v[32:33], v[8:9], s[10:11], v[14:15]
	v_add_f64 v[22:23], -v[18:19], 1.0
	v_fma_f64 v[32:33], v[8:9], v[32:33], s[12:13]
	v_add_f64 v[28:29], -v[22:23], 1.0
	v_fma_f64 v[32:33], v[8:9], v[32:33], s[14:15]
	v_add_f64 v[18:19], v[28:29], -v[18:19]
	v_fma_f64 v[32:33], v[8:9], v[32:33], s[16:17]
	v_mul_f64 v[28:29], v[8:9], v[8:9]
	s_waitcnt vmcnt(0)
	v_fma_f64 v[18:19], v[38:39], -v[42:43], v[18:19]
	v_fma_f64 v[32:33], v[8:9], v[32:33], s[18:19]
	v_fma_f64 v[18:19], v[28:29], v[32:33], v[18:19]
	v_mul_f64 v[28:29], v[38:39], -v[8:9]
	v_mul_f64 v[32:33], v[42:43], 0.5
	v_add_f64 v[18:19], v[22:23], v[18:19]
	v_fma_f64 v[22:23], v[8:9], s[22:23], v[12:13]
	v_fma_f64 v[22:23], v[8:9], v[22:23], s[24:25]
	;; [unrolled: 1-line block ×5, first 2 shown]
	v_fma_f64 v[8:9], v[8:9], v[22:23], -v[42:43]
	buffer_load_dword v23, off, s[96:99], 0 offset:96 ; 4-byte Folded Reload
	v_fma_f64 v[8:9], v[28:29], s[30:31], v[8:9]
	v_add_f64 v[8:9], v[38:39], -v[8:9]
	v_xor_b32_e32 v9, 0x80000000, v9
	s_waitcnt vmcnt(0)
	v_and_b32_e32 v22, 1, v23
	v_cmp_eq_u32_e32 vcc, 0, v22
	v_cndmask_b32_e32 v8, v8, v18, vcc
	v_lshlrev_b32_e32 v18, 30, v23
	v_cndmask_b32_e32 v9, v9, v19, vcc
	v_and_b32_e32 v18, 0x80000000, v18
	v_xor_b32_e32 v9, v9, v18
	v_cndmask_b32_e64 v8, 0, v8, s[2:3]
	v_cndmask_b32_e64 v9, v62, v9, s[2:3]
	v_mul_f64 v[8:9], s[8:9], v[8:9]
	v_mul_f64 v[18:19], v[2:3], v[2:3]
	v_fma_f64 v[0:1], v[0:1], v[8:9], v[20:21]
	v_mul_f64 v[8:9], v[18:19], 0.5
	v_fma_f64 v[32:33], v[18:19], s[10:11], v[14:15]
	v_add_f64 v[22:23], -v[8:9], 1.0
	v_fma_f64 v[32:33], v[18:19], v[32:33], s[12:13]
	v_add_f64 v[28:29], -v[22:23], 1.0
	v_fma_f64 v[32:33], v[18:19], v[32:33], s[14:15]
	v_add_f64 v[8:9], v[28:29], -v[8:9]
	v_fma_f64 v[32:33], v[18:19], v[32:33], s[16:17]
	v_mul_f64 v[28:29], v[18:19], v[18:19]
	v_fma_f64 v[8:9], v[2:3], -v[16:17], v[8:9]
	v_fma_f64 v[32:33], v[18:19], v[32:33], s[18:19]
	v_fma_f64 v[8:9], v[28:29], v[32:33], v[8:9]
	v_mul_f64 v[28:29], v[2:3], -v[18:19]
	v_mul_f64 v[32:33], v[16:17], 0.5
	v_add_f64 v[8:9], v[22:23], v[8:9]
	v_fma_f64 v[22:23], v[18:19], s[22:23], v[12:13]
	v_fma_f64 v[22:23], v[18:19], v[22:23], s[24:25]
	;; [unrolled: 1-line block ×5, first 2 shown]
	v_fma_f64 v[16:17], v[18:19], v[22:23], -v[16:17]
	v_fma_f64 v[16:17], v[28:29], s[30:31], v[16:17]
	v_add_f64 v[2:3], v[2:3], -v[16:17]
	buffer_load_dword v17, off, s[96:99], 0 offset:208 ; 4-byte Folded Reload
	buffer_load_dword v28, off, s[96:99], 0 offset:152 ; 4-byte Folded Reload
	;; [unrolled: 1-line block ×3, first 2 shown]
	v_xor_b32_e32 v3, 0x80000000, v3
	s_waitcnt vmcnt(2)
	v_and_b32_e32 v16, 1, v17
	v_cmp_eq_u32_e32 vcc, 0, v16
	v_cndmask_b32_e32 v2, v2, v8, vcc
	v_lshlrev_b32_e32 v8, 30, v17
	v_cndmask_b32_e32 v3, v3, v9, vcc
	v_and_b32_e32 v8, 0x80000000, v8
	v_xor_b32_e32 v3, v3, v8
	v_cndmask_b32_e64 v2, 0, v2, s[2:3]
	v_cndmask_b32_e64 v3, v62, v3, s[2:3]
	v_mul_f64 v[2:3], v[30:31], v[2:3]
	v_fma_f64 v[2:3], v[10:11], v[26:27], v[2:3]
	v_div_scale_f64 v[8:9], s[4:5], v[0:1], v[0:1], -v[2:3]
	v_rcp_f64_e32 v[10:11], v[8:9]
	v_fma_f64 v[16:17], -v[8:9], v[10:11], 1.0
	v_fma_f64 v[10:11], v[10:11], v[16:17], v[10:11]
	v_fma_f64 v[16:17], -v[8:9], v[10:11], 1.0
	v_fma_f64 v[10:11], v[10:11], v[16:17], v[10:11]
	v_div_scale_f64 v[16:17], vcc, -v[2:3], v[0:1], -v[2:3]
	v_mul_f64 v[18:19], v[16:17], v[10:11]
	v_fma_f64 v[8:9], -v[8:9], v[18:19], v[16:17]
	s_nop 1
	v_div_fmas_f64 v[8:9], v[8:9], v[10:11], v[18:19]
	v_div_fixup_f64 v[22:23], v[8:9], v[0:1], -v[2:3]
	v_mul_f64 v[8:9], v[36:37], v[36:37]
	v_mul_f64 v[2:3], v[58:59], v[58:59]
	v_mul_f64 v[10:11], v[8:9], 0.5
	v_fma_f64 v[26:27], v[8:9], s[10:11], v[14:15]
	v_add_f64 v[16:17], -v[10:11], 1.0
	v_fma_f64 v[26:27], v[8:9], v[26:27], s[12:13]
	v_add_f64 v[18:19], -v[16:17], 1.0
	v_fma_f64 v[26:27], v[8:9], v[26:27], s[14:15]
	v_add_f64 v[10:11], v[18:19], -v[10:11]
	v_fma_f64 v[26:27], v[8:9], v[26:27], s[16:17]
	v_mul_f64 v[18:19], v[8:9], v[8:9]
	s_waitcnt vmcnt(0)
	v_fma_f64 v[10:11], v[36:37], -v[28:29], v[10:11]
	v_fma_f64 v[26:27], v[8:9], v[26:27], s[18:19]
	v_fma_f64 v[10:11], v[18:19], v[26:27], v[10:11]
	v_mul_f64 v[18:19], v[36:37], -v[8:9]
	v_mul_f64 v[26:27], v[28:29], 0.5
	v_add_f64 v[10:11], v[16:17], v[10:11]
	v_fma_f64 v[16:17], v[8:9], s[22:23], v[12:13]
	v_fma_f64 v[16:17], v[8:9], v[16:17], s[24:25]
	;; [unrolled: 1-line block ×5, first 2 shown]
	v_fma_f64 v[8:9], v[8:9], v[16:17], -v[28:29]
	buffer_load_dword v17, off, s[96:99], 0 offset:128 ; 4-byte Folded Reload
	buffer_load_dword v28, off, s[96:99], 0 offset:168 ; 4-byte Folded Reload
	;; [unrolled: 1-line block ×3, first 2 shown]
	v_fma_f64 v[8:9], v[18:19], s[30:31], v[8:9]
	v_add_f64 v[8:9], v[36:37], -v[8:9]
	v_xor_b32_e32 v9, 0x80000000, v9
	s_waitcnt vmcnt(2)
	v_and_b32_e32 v16, 1, v17
	v_cmp_eq_u32_e32 vcc, 0, v16
	v_cndmask_b32_e32 v8, v8, v10, vcc
	v_lshlrev_b32_e32 v10, 30, v17
	v_cndmask_b32_e32 v9, v9, v11, vcc
	v_and_b32_e32 v10, 0x80000000, v10
	v_xor_b32_e32 v9, v9, v10
	v_cndmask_b32_e64 v8, 0, v8, s[0:1]
	v_cndmask_b32_e64 v9, v62, v9, s[0:1]
	v_mul_f64 v[2:3], v[2:3], v[8:9]
	v_mul_f64 v[8:9], v[40:41], v[40:41]
	v_mul_f64 v[10:11], v[8:9], 0.5
	v_fma_f64 v[26:27], v[8:9], s[10:11], v[14:15]
	v_add_f64 v[16:17], -v[10:11], 1.0
	v_fma_f64 v[26:27], v[8:9], v[26:27], s[12:13]
	v_add_f64 v[18:19], -v[16:17], 1.0
	v_fma_f64 v[26:27], v[8:9], v[26:27], s[14:15]
	v_add_f64 v[10:11], v[18:19], -v[10:11]
	v_fma_f64 v[26:27], v[8:9], v[26:27], s[16:17]
	v_mul_f64 v[18:19], v[8:9], v[8:9]
	s_waitcnt vmcnt(0)
	v_fma_f64 v[10:11], v[40:41], -v[28:29], v[10:11]
	v_fma_f64 v[26:27], v[8:9], v[26:27], s[18:19]
	v_fma_f64 v[10:11], v[18:19], v[26:27], v[10:11]
	v_mul_f64 v[18:19], v[40:41], -v[8:9]
	v_mul_f64 v[26:27], v[28:29], 0.5
	v_add_f64 v[10:11], v[16:17], v[10:11]
	v_fma_f64 v[16:17], v[8:9], s[22:23], v[12:13]
	v_fma_f64 v[16:17], v[8:9], v[16:17], s[24:25]
	;; [unrolled: 1-line block ×5, first 2 shown]
	v_fma_f64 v[8:9], v[8:9], v[16:17], -v[28:29]
	buffer_load_dword v17, off, s[96:99], 0 offset:160 ; 4-byte Folded Reload
	buffer_load_dword v28, off, s[96:99], 0 offset:200 ; 4-byte Folded Reload
	;; [unrolled: 1-line block ×3, first 2 shown]
	v_fma_f64 v[8:9], v[18:19], s[30:31], v[8:9]
	v_add_f64 v[8:9], v[40:41], -v[8:9]
	v_xor_b32_e32 v9, 0x80000000, v9
	s_waitcnt vmcnt(2)
	v_and_b32_e32 v16, 1, v17
	v_cmp_eq_u32_e32 vcc, 0, v16
	v_cndmask_b32_e32 v8, v8, v10, vcc
	v_lshlrev_b32_e32 v10, 30, v17
	v_cndmask_b32_e32 v9, v9, v11, vcc
	v_and_b32_e32 v10, 0x80000000, v10
	v_xor_b32_e32 v9, v9, v10
	v_cndmask_b32_e64 v8, 0, v8, s[2:3]
	v_cndmask_b32_e64 v9, v62, v9, s[2:3]
	v_mul_f64 v[2:3], v[2:3], v[8:9]
	v_mul_f64 v[8:9], v[46:47], v[58:59]
	;; [unrolled: 1-line block ×4, first 2 shown]
	v_mul_f64 v[10:11], v[8:9], 0.5
	v_fma_f64 v[26:27], v[8:9], s[10:11], v[14:15]
	v_add_f64 v[16:17], -v[10:11], 1.0
	v_fma_f64 v[26:27], v[8:9], v[26:27], s[12:13]
	v_add_f64 v[18:19], -v[16:17], 1.0
	v_fma_f64 v[26:27], v[8:9], v[26:27], s[14:15]
	v_add_f64 v[10:11], v[18:19], -v[10:11]
	v_fma_f64 v[26:27], v[8:9], v[26:27], s[16:17]
	v_mul_f64 v[18:19], v[8:9], v[8:9]
	s_waitcnt vmcnt(0)
	v_fma_f64 v[10:11], v[48:49], -v[28:29], v[10:11]
	v_fma_f64 v[26:27], v[8:9], v[26:27], s[18:19]
	v_fma_f64 v[10:11], v[18:19], v[26:27], v[10:11]
	v_mul_f64 v[18:19], v[48:49], -v[8:9]
	v_mul_f64 v[26:27], v[28:29], 0.5
	v_add_f64 v[10:11], v[16:17], v[10:11]
	v_fma_f64 v[16:17], v[8:9], s[22:23], v[12:13]
	v_fma_f64 v[16:17], v[8:9], v[16:17], s[24:25]
	;; [unrolled: 1-line block ×5, first 2 shown]
	v_fma_f64 v[8:9], v[8:9], v[16:17], -v[28:29]
	buffer_load_dword v17, off, s[96:99], 0 offset:184 ; 4-byte Folded Reload
	v_fma_f64 v[8:9], v[18:19], s[30:31], v[8:9]
	v_add_f64 v[8:9], v[48:49], -v[8:9]
	v_mov_b32_e32 v48, 0x7ff00000
	v_mov_b32_e32 v49, 0x3ff00000
	s_waitcnt vmcnt(0)
	v_and_b32_e32 v16, 1, v17
	v_cmp_eq_u32_e32 vcc, 0, v16
	v_cndmask_b32_e32 v8, v10, v8, vcc
	v_lshlrev_b32_e32 v10, 30, v17
	v_xor_b32_e32 v10, v10, v51
	v_cndmask_b32_e32 v9, v11, v9, vcc
	v_and_b32_e32 v10, 0x80000000, v10
	v_xor_b32_e32 v9, v9, v10
	v_cndmask_b32_e64 v8, 0, v8, s[2:3]
	v_cndmask_b32_e64 v9, v62, v9, s[2:3]
	v_fma_f64 v[2:3], v[4:5], v[8:9], -v[2:3]
	v_div_scale_f64 v[4:5], s[0:1], v[0:1], v[0:1], -v[2:3]
	v_rcp_f64_e32 v[8:9], v[4:5]
	v_fma_f64 v[10:11], -v[4:5], v[8:9], 1.0
	v_fma_f64 v[8:9], v[8:9], v[10:11], v[8:9]
	v_fma_f64 v[10:11], -v[4:5], v[8:9], 1.0
	v_fma_f64 v[8:9], v[8:9], v[10:11], v[8:9]
	v_div_scale_f64 v[10:11], vcc, -v[2:3], v[0:1], -v[2:3]
	v_mul_f64 v[16:17], v[10:11], v[8:9]
	v_fma_f64 v[4:5], -v[4:5], v[16:17], v[10:11]
	s_nop 1
	v_div_fmas_f64 v[4:5], v[4:5], v[8:9], v[16:17]
	v_add_f64 v[16:17], -v[60:61], 1.0
	v_cmp_gt_f64_e32 vcc, s[6:7], v[16:17]
	s_mov_b32 s6, 0
	s_mov_b32 s7, 0xc090cc00
	v_div_fixup_f64 v[26:27], v[4:5], v[0:1], -v[2:3]
	s_and_b64 s[0:1], vcc, exec
	s_cselect_b32 s0, 0x100, 0
	v_ldexp_f64 v[2:3], v[16:17], s0
	s_cselect_b32 s0, 0xffffff80, 0
	v_rsq_f64_e32 v[4:5], v[2:3]
	v_cmp_class_f64_e32 vcc, v[2:3], v34
	v_mul_f64 v[8:9], v[2:3], v[4:5]
	v_mul_f64 v[4:5], v[4:5], 0.5
	v_fma_f64 v[10:11], -v[4:5], v[8:9], 0.5
	v_fma_f64 v[8:9], v[8:9], v[10:11], v[8:9]
	v_fma_f64 v[4:5], v[4:5], v[10:11], v[4:5]
	v_fma_f64 v[18:19], -v[8:9], v[8:9], v[2:3]
	v_fma_f64 v[8:9], v[18:19], v[4:5], v[8:9]
	v_fma_f64 v[10:11], -v[8:9], v[8:9], v[2:3]
	v_fma_f64 v[4:5], v[10:11], v[4:5], v[8:9]
	v_ldexp_f64 v[4:5], v[4:5], s0
	s_mov_b32 s0, 0x88e368f1
	s_mov_b32 s1, 0x3ee4f8b5
	v_cndmask_b32_e32 v3, v5, v3, vcc
	v_cndmask_b32_e32 v2, v4, v2, vcc
	v_add_f64 v[2:3], v[2:3], 1.0
	v_cmp_eq_f64_e32 vcc, 1.0, v[16:17]
	v_add_f64 v[2:3], v[2:3], s[0:1]
	buffer_store_dword v2, off, s[96:99], 0 offset:496 ; 4-byte Folded Spill
	s_nop 0
	buffer_store_dword v3, off, s[96:99], 0 offset:500 ; 4-byte Folded Spill
	v_frexp_mant_f64_e64 v[3:4], |v[16:17]|
	s_and_b64 s[0:1], vcc, exec
	v_frexp_exp_i32_f64_e32 v2, v[16:17]
	s_mov_b32 s0, 0x968915a9
	s_mov_b32 s1, 0x3fba6564
	s_cselect_b32 s5, s21, 0x3fd55555
	s_cselect_b32 s4, 0, 0x55555555
	v_cmp_gt_f64_e32 vcc, s[40:41], v[3:4]
	v_cndmask_b32_e64 v5, 0, 1, vcc
	v_ldexp_f64 v[8:9], v[3:4], v5
	v_subbrev_co_u32_e32 v4, vcc, 0, v2, vcc
	v_cvt_f64_i32_e32 v[4:5], v4
	v_add_f64 v[10:11], v[8:9], 1.0
	v_add_f64 v[2:3], v[8:9], -1.0
	v_add_f64 v[18:19], v[10:11], -1.0
	v_add_f64 v[8:9], v[8:9], -v[18:19]
	v_rcp_f64_e32 v[18:19], v[10:11]
	v_fma_f64 v[28:29], -v[10:11], v[18:19], 1.0
	v_fma_f64 v[18:19], v[28:29], v[18:19], v[18:19]
	v_fma_f64 v[28:29], -v[10:11], v[18:19], 1.0
	v_fma_f64 v[18:19], v[28:29], v[18:19], v[18:19]
	v_mul_f64 v[28:29], v[2:3], v[18:19]
	v_mul_f64 v[30:31], v[10:11], v[28:29]
	v_fma_f64 v[10:11], v[28:29], v[10:11], -v[30:31]
	v_fma_f64 v[8:9], v[28:29], v[8:9], v[10:11]
	v_add_f64 v[10:11], v[30:31], v[8:9]
	v_add_f64 v[32:33], v[2:3], -v[10:11]
	v_add_f64 v[30:31], v[10:11], -v[30:31]
	;; [unrolled: 1-line block ×4, first 2 shown]
	v_mul_f64 v[30:31], v[4:5], s[58:59]
	v_add_f64 v[2:3], v[2:3], -v[10:11]
	v_add_f64 v[2:3], v[8:9], v[2:3]
	v_add_f64 v[2:3], v[32:33], v[2:3]
	v_mul_f64 v[2:3], v[18:19], v[2:3]
	v_add_f64 v[18:19], v[28:29], v[2:3]
	v_add_f64 v[8:9], v[18:19], -v[28:29]
	v_ldexp_f64 v[32:33], v[18:19], 1
	v_add_f64 v[34:35], v[2:3], -v[8:9]
	v_mul_f64 v[2:3], v[18:19], v[18:19]
	v_add_f64 v[10:11], v[34:35], v[34:35]
	v_fma_f64 v[8:9], v[18:19], v[18:19], -v[2:3]
	v_fma_f64 v[10:11], v[18:19], v[10:11], v[8:9]
	v_add_f64 v[8:9], v[2:3], v[10:11]
	v_add_f64 v[2:3], v[8:9], -v[2:3]
	v_mul_f64 v[40:41], v[18:19], v[8:9]
	v_add_f64 v[10:11], v[10:11], -v[2:3]
	v_mov_b32_e32 v3, s1
	v_mov_b32_e32 v2, s0
	v_fma_f64 v[28:29], v[8:9], s[84:85], v[2:3]
	v_fma_f64 v[36:37], v[8:9], v[18:19], -v[40:41]
	s_mov_b32 s0, 0xfca7ab0c
	s_mov_b32 s1, 0x3e928af3
	v_fma_f64 v[28:29], v[8:9], v[28:29], s[44:45]
	v_fma_f64 v[28:29], v[8:9], v[28:29], s[46:47]
	;; [unrolled: 1-line block ×7, first 2 shown]
	v_fma_f64 v[28:29], v[4:5], s[58:59], -v[30:31]
	v_fma_f64 v[4:5], v[4:5], s[62:63], v[28:29]
	v_add_f64 v[28:29], v[30:31], v[4:5]
	v_add_f64 v[30:31], v[28:29], -v[30:31]
	v_add_f64 v[4:5], v[4:5], -v[30:31]
	v_ldexp_f64 v[30:31], v[34:35], 1
	v_fma_f64 v[34:35], v[8:9], v[34:35], v[36:37]
	v_fma_f64 v[18:19], v[10:11], v[18:19], v[34:35]
	v_add_f64 v[36:37], v[40:41], v[18:19]
	v_add_f64 v[34:35], v[36:37], -v[40:41]
	v_add_f64 v[34:35], v[18:19], -v[34:35]
	v_mul_f64 v[18:19], v[8:9], v[38:39]
	v_fma_f64 v[8:9], v[8:9], v[38:39], -v[18:19]
	v_fma_f64 v[8:9], v[10:11], v[38:39], v[8:9]
	v_add_f64 v[10:11], v[18:19], v[8:9]
	v_add_f64 v[18:19], v[10:11], -v[18:19]
	v_add_f64 v[8:9], v[8:9], -v[18:19]
	v_add_f64 v[18:19], v[10:11], s[40:41]
	v_add_f64 v[8:9], v[8:9], s[66:67]
	;; [unrolled: 1-line block ×3, first 2 shown]
	v_add_f64 v[10:11], v[10:11], -v[38:39]
	v_add_f64 v[8:9], v[8:9], v[10:11]
	v_add_f64 v[10:11], v[18:19], v[8:9]
	v_add_f64 v[18:19], v[18:19], -v[10:11]
	v_add_f64 v[8:9], v[8:9], v[18:19]
	v_mul_f64 v[18:19], v[36:37], v[10:11]
	v_fma_f64 v[38:39], v[36:37], v[10:11], -v[18:19]
	v_fma_f64 v[8:9], v[36:37], v[8:9], v[38:39]
	v_fma_f64 v[8:9], v[34:35], v[10:11], v[8:9]
	v_add_f64 v[10:11], v[18:19], v[8:9]
	v_add_f64 v[18:19], v[10:11], -v[18:19]
	v_add_f64 v[8:9], v[8:9], -v[18:19]
	v_add_f64 v[18:19], v[32:33], v[10:11]
	v_add_f64 v[8:9], v[30:31], v[8:9]
	v_add_f64 v[32:33], v[18:19], -v[32:33]
	v_add_f64 v[10:11], v[10:11], -v[32:33]
	v_add_f64 v[8:9], v[8:9], v[10:11]
	;; [unrolled: 4-line block ×3, first 2 shown]
	v_add_f64 v[30:31], v[18:19], -v[28:29]
	v_add_f64 v[32:33], v[18:19], -v[30:31]
	v_add_f64 v[10:11], v[10:11], -v[30:31]
	v_add_f64 v[28:29], v[28:29], -v[32:33]
	v_add_f64 v[10:11], v[10:11], v[28:29]
	v_add_f64 v[28:29], v[4:5], v[8:9]
	v_add_f64 v[30:31], v[28:29], -v[4:5]
	v_add_f64 v[32:33], v[28:29], -v[30:31]
	;; [unrolled: 1-line block ×4, first 2 shown]
	v_add_f64 v[4:5], v[8:9], v[4:5]
	v_add_f64 v[8:9], v[28:29], v[10:11]
	;; [unrolled: 1-line block ×3, first 2 shown]
	v_add_f64 v[18:19], v[10:11], -v[18:19]
	v_add_f64 v[8:9], v[8:9], -v[18:19]
	v_add_f64 v[4:5], v[4:5], v[8:9]
	v_add_f64 v[8:9], v[10:11], v[4:5]
	v_add_f64 v[10:11], v[8:9], -v[10:11]
	v_add_f64 v[4:5], v[4:5], -v[10:11]
	v_mul_f64 v[10:11], s[4:5], v[8:9]
	v_fma_f64 v[8:9], s[4:5], v[8:9], -v[10:11]
	v_cmp_class_f64_e64 vcc, v[10:11], s61
	v_fma_f64 v[4:5], s[4:5], v[4:5], v[8:9]
	v_add_f64 v[8:9], v[10:11], v[4:5]
	v_add_f64 v[18:19], v[8:9], -v[10:11]
	v_cndmask_b32_e32 v9, v9, v11, vcc
	v_cndmask_b32_e32 v8, v8, v10, vcc
	v_cmp_neq_f64_e64 vcc, |v[8:9]|, s[68:69]
	v_add_f64 v[4:5], v[4:5], -v[18:19]
	v_cndmask_b32_e32 v11, 0, v5, vcc
	v_cndmask_b32_e32 v10, 0, v4, vcc
	v_mul_f64 v[4:5], v[8:9], s[70:71]
	v_cmp_nlt_f64_e32 vcc, s[42:43], v[8:9]
	v_rndne_f64_e32 v[18:19], v[4:5]
	v_fma_f64 v[4:5], v[18:19], s[72:73], v[8:9]
	v_fma_f64 v[28:29], v[18:19], s[74:75], v[4:5]
	v_mov_b32_e32 v5, s1
	v_mov_b32_e32 v4, s0
	v_cvt_i32_f64_e32 v18, v[18:19]
	v_cmp_ngt_f64_e64 s[0:1], s[6:7], v[8:9]
	v_fma_f64 v[30:31], v[28:29], s[76:77], v[4:5]
	v_fma_f64 v[30:31], v[28:29], v[30:31], s[78:79]
	;; [unrolled: 1-line block ×9, first 2 shown]
	v_fma_f64 v[30:31], v[28:29], v[30:31], 1.0
	v_fma_f64 v[28:29], v[28:29], v[30:31], 1.0
	v_ldexp_f64 v[18:19], v[28:29], v18
	v_add_f64 v[28:29], s[8:9], 1.0
	v_cndmask_b32_e32 v19, v48, v19, vcc
	s_and_b64 vcc, s[0:1], vcc
	v_cndmask_b32_e32 v8, 0, v18, vcc
	v_cndmask_b32_e64 v9, 0, v19, s[0:1]
	v_fma_f64 v[10:11], v[8:9], v[10:11], v[8:9]
	v_cmp_class_f64_e64 vcc, v[8:9], s61
	v_cndmask_b32_e32 v8, v10, v8, vcc
	v_cndmask_b32_e32 v9, v11, v9, vcc
	v_trunc_f64_e32 v[10:11], s[4:5]
	v_cmp_eq_f64_e32 vcc, s[4:5], v[10:11]
	v_mul_f64 v[10:11], s[4:5], 0.5
	v_cmp_gt_f64_e64 s[4:5], 0, v[16:17]
	v_trunc_f64_e32 v[18:19], v[10:11]
	v_cmp_neq_f64_e64 s[0:1], v[18:19], v[10:11]
	s_and_b64 s[0:1], vcc, s[0:1]
	v_cndmask_b32_e64 v10, v49, v17, s[0:1]
	v_bfi_b32 v9, s20, v9, v10
	v_mov_b32_e32 v10, 0
	v_mov_b32_e32 v11, 0
	buffer_store_dword v10, off, s[96:99], 0 offset:480 ; 4-byte Folded Spill
	s_nop 0
	buffer_store_dword v11, off, s[96:99], 0 offset:484 ; 4-byte Folded Spill
	v_cndmask_b32_e32 v10, v62, v9, vcc
	v_cndmask_b32_e32 v11, 0, v8, vcc
	v_cndmask_b32_e64 v8, v8, v11, s[4:5]
	v_cndmask_b32_e64 v9, v9, v10, s[4:5]
	v_cmp_class_f64_e64 s[4:5], v[16:17], s61
	v_cmp_eq_f64_e32 vcc, 0, v[16:17]
	v_cndmask_b32_e64 v10, 0, v17, s[0:1]
	s_or_b64 s[4:5], vcc, s[4:5]
	s_and_b64 s[34:35], vcc, exec
	v_cmp_o_f64_e32 vcc, v[16:17], v[16:17]
	s_cselect_b32 s34, 0, 0x7ff00000
	v_mov_b32_e32 v11, s34
	v_bfi_b32 v10, s20, v11, v10
	v_cndmask_b32_e64 v9, v9, v10, s[4:5]
	v_cndmask_b32_e64 v8, v8, 0, s[4:5]
	v_frexp_exp_i32_f64_e32 v10, v[28:29]
	v_cndmask_b32_e32 v16, 0, v8, vcc
	v_cndmask_b32_e32 v17, v62, v9, vcc
	v_cmp_eq_f64_e32 vcc, 1.0, v[28:29]
	v_frexp_mant_f64_e64 v[8:9], |v[28:29]|
	s_and_b64 s[0:1], vcc, exec
	v_cmp_gt_f64_e32 vcc, s[40:41], v[8:9]
	s_cselect_b32 s5, s21, 0x3fd55555
	s_cselect_b32 s4, 0, 0x55555555
	v_cndmask_b32_e64 v11, 0, 1, vcc
	v_ldexp_f64 v[8:9], v[8:9], v11
	v_subbrev_co_u32_e32 v38, vcc, 0, v10, vcc
	v_add_f64 v[18:19], v[8:9], 1.0
	v_add_f64 v[10:11], v[8:9], -1.0
	v_add_f64 v[30:31], v[18:19], -1.0
	v_add_f64 v[8:9], v[8:9], -v[30:31]
	v_rcp_f64_e32 v[30:31], v[18:19]
	v_fma_f64 v[32:33], -v[18:19], v[30:31], 1.0
	v_fma_f64 v[30:31], v[32:33], v[30:31], v[30:31]
	v_fma_f64 v[32:33], -v[18:19], v[30:31], 1.0
	v_fma_f64 v[30:31], v[32:33], v[30:31], v[30:31]
	v_mul_f64 v[32:33], v[10:11], v[30:31]
	v_mul_f64 v[34:35], v[18:19], v[32:33]
	v_fma_f64 v[18:19], v[32:33], v[18:19], -v[34:35]
	v_fma_f64 v[8:9], v[32:33], v[8:9], v[18:19]
	v_add_f64 v[18:19], v[34:35], v[8:9]
	v_add_f64 v[36:37], v[10:11], -v[18:19]
	v_add_f64 v[34:35], v[18:19], -v[34:35]
	v_add_f64 v[10:11], v[10:11], -v[36:37]
	v_add_f64 v[8:9], v[34:35], -v[8:9]
	v_add_f64 v[10:11], v[10:11], -v[18:19]
	v_add_f64 v[8:9], v[8:9], v[10:11]
	v_add_f64 v[8:9], v[36:37], v[8:9]
	v_mul_f64 v[8:9], v[30:31], v[8:9]
	v_add_f64 v[18:19], v[32:33], v[8:9]
	v_add_f64 v[10:11], v[18:19], -v[32:33]
	v_add_f64 v[30:31], v[8:9], -v[10:11]
	v_mul_f64 v[8:9], v[18:19], v[18:19]
	v_add_f64 v[32:33], v[30:31], v[30:31]
	v_fma_f64 v[10:11], v[18:19], v[18:19], -v[8:9]
	v_ldexp_f64 v[40:41], v[30:31], 1
	v_fma_f64 v[10:11], v[18:19], v[32:33], v[10:11]
	v_add_f64 v[32:33], v[8:9], v[10:11]
	v_add_f64 v[8:9], v[32:33], -v[8:9]
	v_mul_f64 v[42:43], v[18:19], v[32:33]
	v_add_f64 v[34:35], v[10:11], -v[8:9]
	v_fma_f64 v[8:9], v[32:33], s[84:85], v[2:3]
	v_fma_f64 v[44:45], v[32:33], v[18:19], -v[42:43]
	v_fma_f64 v[8:9], v[32:33], v[8:9], s[44:45]
	v_fma_f64 v[30:31], v[32:33], v[30:31], v[44:45]
	;; [unrolled: 1-line block ×8, first 2 shown]
	v_cvt_f64_i32_e32 v[8:9], v38
	v_mul_f64 v[38:39], v[8:9], s[58:59]
	v_fma_f64 v[10:11], v[8:9], s[58:59], -v[38:39]
	v_fma_f64 v[8:9], v[8:9], s[62:63], v[10:11]
	v_add_f64 v[10:11], v[38:39], v[8:9]
	v_add_f64 v[38:39], v[10:11], -v[38:39]
	v_add_f64 v[8:9], v[8:9], -v[38:39]
	v_ldexp_f64 v[38:39], v[18:19], 1
	v_fma_f64 v[18:19], v[34:35], v[18:19], v[30:31]
	v_add_f64 v[30:31], v[42:43], v[18:19]
	v_add_f64 v[42:43], v[30:31], -v[42:43]
	v_add_f64 v[18:19], v[18:19], -v[42:43]
	v_mul_f64 v[42:43], v[32:33], v[36:37]
	v_fma_f64 v[32:33], v[32:33], v[36:37], -v[42:43]
	v_fma_f64 v[32:33], v[34:35], v[36:37], v[32:33]
	v_add_f64 v[34:35], v[42:43], v[32:33]
	v_add_f64 v[36:37], v[34:35], -v[42:43]
	v_add_f64 v[32:33], v[32:33], -v[36:37]
	v_add_f64 v[36:37], v[34:35], s[40:41]
	v_add_f64 v[32:33], v[32:33], s[66:67]
	;; [unrolled: 1-line block ×3, first 2 shown]
	v_add_f64 v[34:35], v[34:35], -v[42:43]
	v_add_f64 v[32:33], v[32:33], v[34:35]
	v_add_f64 v[34:35], v[36:37], v[32:33]
	v_add_f64 v[36:37], v[36:37], -v[34:35]
	v_add_f64 v[32:33], v[32:33], v[36:37]
	v_mul_f64 v[36:37], v[30:31], v[34:35]
	v_fma_f64 v[42:43], v[30:31], v[34:35], -v[36:37]
	v_fma_f64 v[30:31], v[30:31], v[32:33], v[42:43]
	v_fma_f64 v[18:19], v[18:19], v[34:35], v[30:31]
	v_add_f64 v[30:31], v[36:37], v[18:19]
	v_add_f64 v[32:33], v[30:31], -v[36:37]
	v_add_f64 v[18:19], v[18:19], -v[32:33]
	v_add_f64 v[32:33], v[38:39], v[30:31]
	v_add_f64 v[18:19], v[40:41], v[18:19]
	v_add_f64 v[34:35], v[32:33], -v[38:39]
	v_add_f64 v[30:31], v[30:31], -v[34:35]
	v_add_f64 v[18:19], v[18:19], v[30:31]
	;; [unrolled: 4-line block ×3, first 2 shown]
	v_add_f64 v[34:35], v[32:33], -v[10:11]
	v_add_f64 v[36:37], v[32:33], -v[34:35]
	;; [unrolled: 1-line block ×4, first 2 shown]
	v_add_f64 v[10:11], v[30:31], v[10:11]
	v_add_f64 v[30:31], v[8:9], v[18:19]
	v_add_f64 v[34:35], v[30:31], -v[8:9]
	v_add_f64 v[10:11], v[30:31], v[10:11]
	v_add_f64 v[36:37], v[30:31], -v[34:35]
	v_add_f64 v[18:19], v[18:19], -v[34:35]
	;; [unrolled: 1-line block ×3, first 2 shown]
	v_add_f64 v[8:9], v[18:19], v[8:9]
	v_add_f64 v[18:19], v[32:33], v[10:11]
	v_add_f64 v[30:31], v[18:19], -v[32:33]
	v_add_f64 v[10:11], v[10:11], -v[30:31]
	v_add_f64 v[8:9], v[8:9], v[10:11]
	v_add_f64 v[10:11], v[18:19], v[8:9]
	v_add_f64 v[18:19], v[10:11], -v[18:19]
	v_add_f64 v[8:9], v[8:9], -v[18:19]
	v_mul_f64 v[18:19], s[4:5], v[10:11]
	v_fma_f64 v[10:11], s[4:5], v[10:11], -v[18:19]
	v_cmp_class_f64_e64 vcc, v[18:19], s61
	v_fma_f64 v[8:9], s[4:5], v[8:9], v[10:11]
	v_add_f64 v[10:11], v[18:19], v[8:9]
	v_add_f64 v[30:31], v[10:11], -v[18:19]
	v_cndmask_b32_e32 v11, v11, v19, vcc
	v_cndmask_b32_e32 v10, v10, v18, vcc
	v_mul_f64 v[18:19], v[10:11], s[70:71]
	v_cmp_neq_f64_e64 vcc, |v[10:11]|, s[68:69]
	v_cmp_ngt_f64_e64 s[0:1], s[6:7], v[10:11]
	v_add_f64 v[8:9], v[8:9], -v[30:31]
	v_rndne_f64_e32 v[18:19], v[18:19]
	v_cndmask_b32_e32 v9, 0, v9, vcc
	v_cndmask_b32_e32 v8, 0, v8, vcc
	v_cmp_nlt_f64_e32 vcc, s[42:43], v[10:11]
	v_fma_f64 v[30:31], v[18:19], s[72:73], v[10:11]
	s_and_b64 s[34:35], s[0:1], vcc
	v_fma_f64 v[30:31], v[18:19], s[74:75], v[30:31]
	v_cvt_i32_f64_e32 v18, v[18:19]
	s_and_b64 s[34:35], s[34:35], exec
	v_fma_f64 v[32:33], v[30:31], s[76:77], v[4:5]
	v_fma_f64 v[32:33], v[30:31], v[32:33], s[78:79]
	;; [unrolled: 1-line block ×9, first 2 shown]
	v_fma_f64 v[32:33], v[30:31], v[32:33], 1.0
	v_fma_f64 v[30:31], v[30:31], v[32:33], 1.0
	v_ldexp_f64 v[18:19], v[30:31], v18
	v_readfirstlane_b32 s36, v18
	v_cndmask_b32_e32 v19, v48, v19, vcc
	s_cselect_b32 s34, s36, 0
	v_cndmask_b32_e64 v11, 0, v19, s[0:1]
	v_mov_b32_e32 v10, s34
	v_fma_f64 v[8:9], v[10:11], v[8:9], v[10:11]
	v_cmp_class_f64_e64 vcc, v[10:11], s61
	v_readfirstlane_b32 s35, v8
	v_cndmask_b32_e32 v8, v9, v11, vcc
	v_trunc_f64_e32 v[9:10], s[4:5]
	s_and_b64 s[0:1], vcc, exec
	s_cselect_b32 s34, s34, s35
	v_cmp_eq_f64_e32 vcc, s[4:5], v[9:10]
	v_mul_f64 v[9:10], s[4:5], 0.5
	v_cmp_gt_f64_e64 s[4:5], 0, v[28:29]
	v_trunc_f64_e32 v[18:19], v[9:10]
	v_cmp_neq_f64_e64 s[0:1], v[18:19], v[9:10]
	s_and_b64 s[0:1], vcc, s[0:1]
	v_cndmask_b32_e64 v9, v49, v29, s[0:1]
	v_bfi_b32 v8, s20, v8, v9
	v_cndmask_b32_e32 v9, v62, v8, vcc
	s_and_b64 s[36:37], vcc, exec
	s_cselect_b32 s35, s34, 0
	s_and_b64 s[36:37], s[4:5], exec
	v_cndmask_b32_e64 v8, v8, v9, s[4:5]
	v_cmp_class_f64_e64 s[4:5], v[28:29], s61
	v_cmp_eq_f64_e32 vcc, 0, v[28:29]
	s_cselect_b32 s36, s35, s34
	v_cndmask_b32_e64 v9, 0, v29, s[0:1]
	s_or_b64 s[4:5], vcc, s[4:5]
	s_and_b64 s[34:35], vcc, exec
	v_cmp_o_f64_e32 vcc, v[28:29], v[28:29]
	v_add_f64 v[28:29], -s[8:9], 1.0
	s_cselect_b32 s34, 0, 0x7ff00000
	v_mov_b32_e32 v10, s34
	v_bfi_b32 v9, s20, v10, v9
	s_and_b64 s[0:1], s[4:5], exec
	v_cndmask_b32_e64 v8, v8, v9, s[4:5]
	s_cselect_b32 s4, 0, s36
	s_and_b64 s[0:1], vcc, exec
	s_cselect_b32 s0, s4, 0
	v_cndmask_b32_e32 v9, v62, v8, vcc
	v_mov_b32_e32 v8, s0
	v_fma_f64 v[16:17], v[8:9], v[16:17], 1.0
	v_cmp_eq_f64_e32 vcc, 1.0, v[28:29]
	v_frexp_mant_f64_e64 v[8:9], |v[28:29]|
	v_frexp_exp_i32_f64_e32 v10, v[28:29]
	s_and_b64 s[0:1], vcc, exec
	v_cmp_gt_f64_e32 vcc, s[40:41], v[8:9]
	s_cselect_b32 s5, s21, 0x3fd55555
	s_cselect_b32 s4, 0, 0x55555555
	s_mov_b32 s1, s41
	v_writelane_b32 v63, s0, 0
	v_writelane_b32 v63, s1, 1
	s_mov_b32 s1, s65
	v_writelane_b32 v63, s0, 2
	v_cndmask_b32_e64 v11, 0, 1, vcc
	v_ldexp_f64 v[8:9], v[8:9], v11
	v_subbrev_co_u32_e32 v40, vcc, 0, v10, vcc
	v_writelane_b32 v63, s1, 3
	s_mov_b32 s1, s73
	v_writelane_b32 v63, s0, 4
	v_writelane_b32 v63, s1, 5
	s_mov_b32 s1, s75
	v_add_f64 v[18:19], v[8:9], 1.0
	v_add_f64 v[10:11], v[8:9], -1.0
	v_writelane_b32 v63, s0, 6
	v_writelane_b32 v63, s1, 7
	s_mov_b32 s0, s88
	v_writelane_b32 v63, s0, 8
	v_writelane_b32 v63, s1, 9
	s_mov_b32 s0, s90
	v_add_f64 v[30:31], v[18:19], -1.0
	v_writelane_b32 v63, s0, 10
	v_writelane_b32 v63, s1, 11
	v_add_f64 v[8:9], v[8:9], -v[30:31]
	v_rcp_f64_e32 v[30:31], v[18:19]
	v_fma_f64 v[32:33], -v[18:19], v[30:31], 1.0
	v_fma_f64 v[30:31], v[32:33], v[30:31], v[30:31]
	v_fma_f64 v[32:33], -v[18:19], v[30:31], 1.0
	v_fma_f64 v[30:31], v[32:33], v[30:31], v[30:31]
	v_mul_f64 v[32:33], v[10:11], v[30:31]
	v_mul_f64 v[34:35], v[18:19], v[32:33]
	v_fma_f64 v[18:19], v[32:33], v[18:19], -v[34:35]
	v_fma_f64 v[8:9], v[32:33], v[8:9], v[18:19]
	v_add_f64 v[18:19], v[34:35], v[8:9]
	v_add_f64 v[36:37], v[10:11], -v[18:19]
	v_add_f64 v[34:35], v[18:19], -v[34:35]
	;; [unrolled: 1-line block ×5, first 2 shown]
	v_add_f64 v[8:9], v[8:9], v[10:11]
	v_add_f64 v[8:9], v[36:37], v[8:9]
	v_mul_f64 v[8:9], v[30:31], v[8:9]
	v_add_f64 v[18:19], v[32:33], v[8:9]
	v_add_f64 v[10:11], v[18:19], -v[32:33]
	v_add_f64 v[32:33], v[8:9], -v[10:11]
	v_mul_f64 v[8:9], v[18:19], v[18:19]
	v_add_f64 v[30:31], v[32:33], v[32:33]
	v_fma_f64 v[10:11], v[18:19], v[18:19], -v[8:9]
	v_fma_f64 v[10:11], v[18:19], v[30:31], v[10:11]
	v_ldexp_f64 v[30:31], v[18:19], 1
	v_add_f64 v[34:35], v[8:9], v[10:11]
	v_fma_f64 v[2:3], v[34:35], s[84:85], v[2:3]
	v_add_f64 v[8:9], v[34:35], -v[8:9]
	s_mov_b32 s84, 0
	s_mov_b32 s85, 0x3fafa000
	v_fma_f64 v[2:3], v[34:35], v[2:3], s[44:45]
	v_add_f64 v[36:37], v[10:11], -v[8:9]
	s_mov_b32 s44, 0x33145c07
	v_fma_f64 v[2:3], v[34:35], v[2:3], s[46:47]
	s_mov_b32 s46, 0x6dc9c883
	s_mov_b32 s47, 0x3fe45f30
	v_fma_f64 v[2:3], v[34:35], v[2:3], s[48:49]
	s_mov_b32 s48, 0x33145c00
	;; [unrolled: 3-line block ×5, first 2 shown]
	s_mov_b32 s55, 0x3f9e3425
	v_fma_f64 v[38:39], v[34:35], v[2:3], s[56:57]
	v_cvt_f64_i32_e32 v[2:3], v40
	v_mul_f64 v[40:41], v[18:19], v[34:35]
	s_mov_b32 s56, 0
	s_mov_b32 s57, 0x40040000
	v_mul_f64 v[10:11], v[2:3], s[58:59]
	v_fma_f64 v[42:43], v[34:35], v[18:19], -v[40:41]
	v_fma_f64 v[8:9], v[2:3], s[58:59], -v[10:11]
	s_mov_b32 s58, 0
	s_mov_b32 s59, 0x3fd5e000
	v_fma_f64 v[2:3], v[2:3], s[62:63], v[8:9]
	v_add_f64 v[8:9], v[10:11], v[2:3]
	v_add_f64 v[10:11], v[8:9], -v[10:11]
	v_add_f64 v[2:3], v[2:3], -v[10:11]
	v_ldexp_f64 v[10:11], v[32:33], 1
	v_fma_f64 v[32:33], v[34:35], v[32:33], v[42:43]
	v_fma_f64 v[18:19], v[36:37], v[18:19], v[32:33]
	v_add_f64 v[32:33], v[40:41], v[18:19]
	v_add_f64 v[40:41], v[32:33], -v[40:41]
	v_add_f64 v[18:19], v[18:19], -v[40:41]
	v_mul_f64 v[40:41], v[34:35], v[38:39]
	v_fma_f64 v[34:35], v[34:35], v[38:39], -v[40:41]
	v_fma_f64 v[34:35], v[36:37], v[38:39], v[34:35]
	v_add_f64 v[36:37], v[40:41], v[34:35]
	v_add_f64 v[38:39], v[36:37], -v[40:41]
	v_add_f64 v[34:35], v[34:35], -v[38:39]
	v_add_f64 v[38:39], v[36:37], s[40:41]
	s_mov_b32 s40, 0x54442d18
	s_mov_b32 s41, 0xbff921fb
	v_add_f64 v[34:35], v[34:35], s[66:67]
	v_add_f64 v[40:41], v[38:39], s[64:65]
	s_mov_b32 s64, 0x9999999a
	s_mov_b32 s66, 0x12f684be
	;; [unrolled: 1-line block ×4, first 2 shown]
	v_add_f64 v[36:37], v[36:37], -v[40:41]
	v_add_f64 v[34:35], v[34:35], v[36:37]
	v_add_f64 v[36:37], v[38:39], v[34:35]
	v_add_f64 v[38:39], v[38:39], -v[36:37]
	v_add_f64 v[34:35], v[34:35], v[38:39]
	v_mul_f64 v[38:39], v[32:33], v[36:37]
	v_fma_f64 v[40:41], v[32:33], v[36:37], -v[38:39]
	v_fma_f64 v[32:33], v[32:33], v[34:35], v[40:41]
	v_fma_f64 v[18:19], v[18:19], v[36:37], v[32:33]
	v_add_f64 v[32:33], v[38:39], v[18:19]
	v_add_f64 v[34:35], v[32:33], -v[38:39]
	v_add_f64 v[18:19], v[18:19], -v[34:35]
	v_add_f64 v[34:35], v[30:31], v[32:33]
	v_add_f64 v[10:11], v[10:11], v[18:19]
	v_add_f64 v[30:31], v[34:35], -v[30:31]
	v_add_f64 v[30:31], v[32:33], -v[30:31]
	v_add_f64 v[10:11], v[10:11], v[30:31]
	;; [unrolled: 4-line block ×3, first 2 shown]
	v_add_f64 v[32:33], v[30:31], -v[8:9]
	v_add_f64 v[34:35], v[30:31], -v[32:33]
	;; [unrolled: 1-line block ×4, first 2 shown]
	v_add_f64 v[8:9], v[18:19], v[8:9]
	v_add_f64 v[18:19], v[2:3], v[10:11]
	v_add_f64 v[32:33], v[18:19], -v[2:3]
	v_add_f64 v[8:9], v[18:19], v[8:9]
	v_add_f64 v[34:35], v[18:19], -v[32:33]
	v_add_f64 v[10:11], v[10:11], -v[32:33]
	;; [unrolled: 1-line block ×3, first 2 shown]
	v_add_f64 v[2:3], v[10:11], v[2:3]
	v_add_f64 v[10:11], v[30:31], v[8:9]
	v_add_f64 v[18:19], v[10:11], -v[30:31]
	v_mov_b32_e32 v30, 0
	v_mov_b32_e32 v31, v30
	v_add_f64 v[8:9], v[8:9], -v[18:19]
	v_add_f64 v[2:3], v[2:3], v[8:9]
	v_add_f64 v[8:9], v[10:11], v[2:3]
	v_add_f64 v[10:11], v[8:9], -v[10:11]
	v_add_f64 v[2:3], v[2:3], -v[10:11]
	v_mul_f64 v[10:11], s[4:5], v[8:9]
	v_fma_f64 v[8:9], s[4:5], v[8:9], -v[10:11]
	v_cmp_class_f64_e64 vcc, v[10:11], s61
	v_fma_f64 v[2:3], s[4:5], v[2:3], v[8:9]
	v_add_f64 v[8:9], v[10:11], v[2:3]
	v_add_f64 v[18:19], v[8:9], -v[10:11]
	v_cndmask_b32_e32 v9, v9, v11, vcc
	v_cndmask_b32_e32 v8, v8, v10, vcc
	v_mul_f64 v[10:11], v[8:9], s[70:71]
	v_cmp_neq_f64_e64 vcc, |v[8:9]|, s[68:69]
	v_cmp_ngt_f64_e64 s[0:1], s[6:7], v[8:9]
	s_mov_b32 s6, 0
	s_brev_b32 s7, 8
	v_add_f64 v[2:3], v[2:3], -v[18:19]
	s_mov_b32 s68, 0x5ed097b4
	s_mov_b32 s71, 0x3fd33333
	v_rndne_f64_e32 v[10:11], v[10:11]
	s_mov_b32 s69, 0x3fd99f42
	v_cndmask_b32_e32 v3, 0, v3, vcc
	v_cndmask_b32_e32 v2, 0, v2, vcc
	v_cmp_nlt_f64_e32 vcc, s[42:43], v[8:9]
	v_fma_f64 v[18:19], v[10:11], s[72:73], v[8:9]
	s_mov_b32 s43, 0x3c91a626
	s_mov_b32 s73, 0xbfeccccc
	s_and_b64 s[34:35], s[0:1], vcc
	v_fma_f64 v[18:19], v[10:11], s[74:75], v[18:19]
	v_cvt_i32_f64_e32 v10, v[10:11]
	s_and_b64 s[34:35], s[34:35], exec
	s_mov_b32 s75, 0x3ff33333
	v_fma_f64 v[4:5], v[18:19], s[76:77], v[4:5]
	s_mov_b32 s76, 0xcccccccd
	s_mov_b32 s77, 0x3fcccccc
	v_fma_f64 v[4:5], v[18:19], v[4:5], s[78:79]
	s_mov_b32 s78, 0x33333333
	;; [unrolled: 3-line block ×6, first 2 shown]
	v_fma_f64 v[4:5], v[18:19], v[4:5], s[90:91]
	s_mov_b32 s90, 0x2f684bda
	s_mov_b32 s91, 0xc004bda1
	v_fma_f64 v[4:5], v[18:19], v[4:5], s[92:93]
	s_mov_b32 s92, 0
	s_mov_b32 s93, 0x41d00000
	;; [unrolled: 3-line block ×3, first 2 shown]
	v_fma_f64 v[4:5], v[18:19], v[4:5], 1.0
	v_fma_f64 v[4:5], v[18:19], v[4:5], 1.0
	v_ldexp_f64 v[4:5], v[4:5], v10
	v_readfirstlane_b32 s21, v4
	v_cndmask_b32_e32 v5, v48, v5, vcc
	s_cselect_b32 s21, s21, 0
	v_cndmask_b32_e64 v5, 0, v5, s[0:1]
	v_mov_b32_e32 v4, s21
	v_fma_f64 v[2:3], v[4:5], v[2:3], v[4:5]
	v_cmp_class_f64_e64 vcc, v[4:5], s61
	v_readfirstlane_b32 s34, v2
	v_cndmask_b32_e32 v2, v3, v5, vcc
	v_trunc_f64_e32 v[3:4], s[4:5]
	s_and_b64 s[0:1], vcc, exec
	s_cselect_b32 s21, s21, s34
	v_cmp_eq_f64_e32 vcc, s[4:5], v[3:4]
	v_mul_f64 v[3:4], s[4:5], 0.5
	v_cmp_gt_f64_e64 s[4:5], 0, v[28:29]
	v_trunc_f64_e32 v[8:9], v[3:4]
	v_cmp_neq_f64_e64 s[0:1], v[8:9], v[3:4]
	s_and_b64 s[0:1], vcc, s[0:1]
	v_cndmask_b32_e64 v3, v49, v29, s[0:1]
	v_bfi_b32 v2, s20, v2, v3
	v_cndmask_b32_e32 v3, v62, v2, vcc
	s_and_b64 s[34:35], vcc, exec
	s_cselect_b32 s36, s21, 0
	s_and_b64 s[34:35], s[4:5], exec
	v_cndmask_b32_e64 v2, v2, v3, s[4:5]
	v_cmp_class_f64_e64 s[4:5], v[28:29], s61
	v_cmp_eq_f64_e32 vcc, 0, v[28:29]
	s_cselect_b32 s21, s36, s21
	v_cndmask_b32_e64 v3, 0, v29, s[0:1]
	s_mov_b32 s36, 0x8676f310
	s_mov_b32 s37, 0xbfa17cc4
	;; [unrolled: 1-line block ×3, first 2 shown]
	s_or_b64 s[4:5], vcc, s[4:5]
	s_and_b64 s[34:35], vcc, exec
	v_cmp_o_f64_e32 vcc, v[28:29], v[28:29]
	s_cselect_b32 s34, 0, 0x7ff00000
	v_mov_b32_e32 v4, s34
	v_bfi_b32 v3, s20, v4, v3
	s_and_b64 s[0:1], s[4:5], exec
	v_cndmask_b32_e64 v2, v2, v3, s[4:5]
	s_cselect_b32 s4, 0, s21
	v_mov_b32_e32 v4, 0
	s_and_b64 s[0:1], vcc, exec
	s_cselect_b32 s0, s4, 0
	v_cndmask_b32_e32 v3, v62, v2, vcc
	v_mov_b32_e32 v2, s0
	v_add_f64 v[2:3], v[2:3], v[16:17]
	v_mov_b32_e32 v5, 0x40080000
	v_mul_f64 v[4:5], s[8:9], v[4:5]
	s_mov_b32 s0, 0
	v_mov_b32_e32 v28, 0x260
	s_mov_b32 s1, 0x40080000
	s_mov_b32 s34, 0x2ed5a580
	;; [unrolled: 1-line block ×3, first 2 shown]
	v_mul_f64 v[8:9], v[2:3], v[2:3]
	v_fma_f64 v[4:5], s[8:9], v[4:5], v[8:9]
	v_cmp_gt_f64_e32 vcc, s[6:7], v[4:5]
	s_and_b64 s[4:5], vcc, exec
	s_cselect_b32 s4, 0x100, 0
	v_ldexp_f64 v[4:5], v[4:5], s4
	s_cselect_b32 s4, 0xffffff80, 0
	v_rsq_f64_e32 v[8:9], v[4:5]
	v_cmp_class_f64_e32 vcc, v[4:5], v28
	v_mul_f64 v[10:11], v[4:5], v[8:9]
	v_mul_f64 v[8:9], v[8:9], 0.5
	v_fma_f64 v[16:17], -v[8:9], v[10:11], 0.5
	v_fma_f64 v[10:11], v[10:11], v[16:17], v[10:11]
	v_fma_f64 v[8:9], v[8:9], v[16:17], v[8:9]
	v_fma_f64 v[18:19], -v[10:11], v[10:11], v[4:5]
	v_fma_f64 v[10:11], v[18:19], v[8:9], v[10:11]
	v_fma_f64 v[16:17], -v[10:11], v[10:11], v[4:5]
	v_fma_f64 v[8:9], v[16:17], v[8:9], v[10:11]
	v_add_f64 v[10:11], -v[2:3], s[0:1]
	v_add_f64 v[2:3], v[2:3], s[0:1]
	v_ldexp_f64 v[8:9], v[8:9], s4
	s_mov_b32 s4, 0
	s_brev_b32 s5, 8
	v_cndmask_b32_e32 v5, v9, v5, vcc
	v_cndmask_b32_e32 v4, v8, v4, vcc
	v_fma_f64 v[2:3], v[4:5], 2.0, v[2:3]
	v_add_f64 v[8:9], v[4:5], s[0:1]
	v_mul_f64 v[2:3], v[10:11], v[2:3]
	v_cmp_gt_f64_e32 vcc, s[6:7], v[2:3]
	s_and_b64 s[0:1], vcc, exec
	s_cselect_b32 s0, 0x100, 0
	v_ldexp_f64 v[2:3], v[2:3], s0
	s_cselect_b32 s0, 0xffffff80, 0
	v_rsq_f64_e32 v[4:5], v[2:3]
	v_cmp_class_f64_e32 vcc, v[2:3], v28
	v_mov_b32_e32 v28, 0x260
	v_mul_f64 v[10:11], v[2:3], v[4:5]
	v_mul_f64 v[4:5], v[4:5], 0.5
	v_fma_f64 v[16:17], -v[4:5], v[10:11], 0.5
	v_fma_f64 v[10:11], v[10:11], v[16:17], v[10:11]
	v_fma_f64 v[4:5], v[4:5], v[16:17], v[4:5]
	v_fma_f64 v[18:19], -v[10:11], v[10:11], v[2:3]
	v_fma_f64 v[10:11], v[18:19], v[4:5], v[10:11]
	v_fma_f64 v[16:17], -v[10:11], v[10:11], v[2:3]
	v_fma_f64 v[4:5], v[16:17], v[4:5], v[10:11]
	v_ldexp_f64 v[4:5], v[4:5], s0
	v_cndmask_b32_e32 v3, v5, v3, vcc
	v_cndmask_b32_e32 v2, v4, v2, vcc
	v_add_f64 v[2:3], v[8:9], -v[2:3]
	v_cvt_f32_f64_e32 v2, v[2:3]
	v_cvt_f64_f32_e32 v[2:3], v2
	buffer_store_dword v2, off, s[96:99], 0 offset:488 ; 4-byte Folded Spill
	s_nop 0
	buffer_store_dword v3, off, s[96:99], 0 offset:492 ; 4-byte Folded Spill
	buffer_load_dword v16, off, s[96:99], 0 offset:40 ; 4-byte Folded Reload
	buffer_load_dword v17, off, s[96:99], 0 offset:44 ; 4-byte Folded Reload
	v_mul_f64 v[2:3], v[6:7], v[6:7]
	v_mul_f64 v[8:9], v[2:3], 0.5
	v_fma_f64 v[14:15], v[2:3], s[10:11], v[14:15]
	v_add_f64 v[4:5], -v[8:9], 1.0
	v_fma_f64 v[14:15], v[2:3], v[14:15], s[12:13]
	v_add_f64 v[10:11], -v[4:5], 1.0
	v_fma_f64 v[14:15], v[2:3], v[14:15], s[14:15]
	v_add_f64 v[10:11], v[10:11], -v[8:9]
	v_fma_f64 v[14:15], v[2:3], v[14:15], s[16:17]
	v_mul_f64 v[8:9], v[2:3], v[2:3]
	v_fma_f64 v[14:15], v[2:3], v[14:15], s[18:19]
	s_waitcnt vmcnt(0)
	v_fma_f64 v[10:11], v[6:7], -v[16:17], v[10:11]
	v_fma_f64 v[8:9], v[8:9], v[14:15], v[10:11]
	v_mul_f64 v[10:11], v[6:7], -v[2:3]
	v_add_f64 v[4:5], v[4:5], v[8:9]
	v_fma_f64 v[8:9], v[2:3], s[22:23], v[12:13]
	v_mul_f64 v[12:13], v[16:17], 0.5
	v_fma_f64 v[8:9], v[2:3], v[8:9], s[24:25]
	v_fma_f64 v[8:9], v[2:3], v[8:9], s[26:27]
	v_fma_f64 v[8:9], v[2:3], v[8:9], s[28:29]
	v_fma_f64 v[8:9], v[10:11], v[8:9], v[12:13]
	v_fma_f64 v[2:3], v[2:3], v[8:9], -v[16:17]
	v_mul_f64 v[8:9], v[0:1], v[26:27]
	v_fma_f64 v[2:3], v[10:11], s[30:31], v[2:3]
	v_add_f64 v[2:3], v[6:7], -v[2:3]
	buffer_load_dword v7, off, s[96:99], 0 offset:8 ; 4-byte Folded Reload
	s_waitcnt vmcnt(0)
	v_and_b32_e32 v6, 1, v7
	v_cmp_eq_u32_e32 vcc, 0, v6
	v_cndmask_b32_e32 v2, v4, v2, vcc
	v_lshlrev_b32_e32 v4, 30, v7
	v_xor_b32_e32 v4, v4, v51
	v_cndmask_b32_e32 v3, v5, v3, vcc
	v_and_b32_e32 v4, 0x80000000, v4
	v_xor_b32_e32 v3, v3, v4
	v_fma_f64 v[4:5], v[46:47], -2.0, v[20:21]
	v_cndmask_b32_e64 v2, 0, v2, s[2:3]
	v_cndmask_b32_e64 v3, v62, v3, s[2:3]
	v_mul_f64 v[2:3], v[2:3], v[2:3]
	v_add_f64 v[6:7], v[60:61], v[4:5]
	v_fma_f64 v[4:5], v[46:47], -2.0, v[0:1]
	v_div_scale_f64 v[10:11], s[0:1], v[6:7], v[6:7], v[8:9]
	v_rcp_f64_e32 v[12:13], v[10:11]
	v_fma_f64 v[14:15], -v[10:11], v[12:13], 1.0
	v_fma_f64 v[12:13], v[12:13], v[14:15], v[12:13]
	v_fma_f64 v[14:15], -v[10:11], v[12:13], 1.0
	v_fma_f64 v[12:13], v[12:13], v[14:15], v[12:13]
	v_div_scale_f64 v[14:15], vcc, v[8:9], v[6:7], v[8:9]
	v_mul_f64 v[16:17], v[14:15], v[12:13]
	v_fma_f64 v[10:11], -v[10:11], v[16:17], v[14:15]
	s_nop 1
	v_div_fmas_f64 v[10:11], v[10:11], v[12:13], v[16:17]
	v_mul_f64 v[12:13], v[26:27], v[26:27]
	v_div_scale_f64 v[14:15], s[0:1], v[6:7], v[6:7], v[12:13]
	v_div_fixup_f64 v[10:11], v[10:11], v[6:7], v[8:9]
	v_mul_f64 v[8:9], v[0:1], v[22:23]
	v_mul_f64 v[0:1], v[6:7], v[0:1]
	v_rcp_f64_e32 v[16:17], v[14:15]
	v_fma_f64 v[18:19], -v[14:15], v[16:17], 1.0
	v_fma_f64 v[16:17], v[16:17], v[18:19], v[16:17]
	v_fma_f64 v[18:19], -v[14:15], v[16:17], 1.0
	v_fma_f64 v[16:17], v[16:17], v[18:19], v[16:17]
	v_div_scale_f64 v[18:19], vcc, v[12:13], v[6:7], v[12:13]
	v_mul_f64 v[20:21], v[18:19], v[16:17]
	v_fma_f64 v[14:15], -v[14:15], v[20:21], v[18:19]
	s_nop 1
	v_div_fmas_f64 v[14:15], v[14:15], v[16:17], v[20:21]
	v_div_fixup_f64 v[12:13], v[14:15], v[6:7], v[12:13]
	v_mul_f64 v[14:15], v[6:7], v[2:3]
	v_fma_f64 v[12:13], v[22:23], v[22:23], v[12:13]
	v_mul_f64 v[14:15], v[24:25], v[14:15]
	v_mul_f64 v[14:15], v[24:25], v[14:15]
	v_fma_f64 v[12:13], v[4:5], v[12:13], v[14:15]
	v_mov_b32_e32 v14, 0x100
	v_cmp_gt_f64_e32 vcc, s[4:5], v[12:13]
	s_mov_b32 s4, 0x92492492
	s_mov_b32 s5, 0xbf93c924
	v_cndmask_b32_e32 v14, 0, v14, vcc
	v_ldexp_f64 v[12:13], v[12:13], v14
	v_rsq_f64_e32 v[14:15], v[12:13]
	v_mul_f64 v[16:17], v[12:13], v[14:15]
	v_mul_f64 v[14:15], v[14:15], 0.5
	v_fma_f64 v[18:19], -v[14:15], v[16:17], 0.5
	v_fma_f64 v[16:17], v[16:17], v[18:19], v[16:17]
	v_fma_f64 v[14:15], v[14:15], v[18:19], v[14:15]
	v_fma_f64 v[20:21], -v[16:17], v[16:17], v[12:13]
	v_fma_f64 v[16:17], v[20:21], v[14:15], v[16:17]
	v_fma_f64 v[18:19], -v[16:17], v[16:17], v[12:13]
	v_fma_f64 v[14:15], v[18:19], v[14:15], v[16:17]
	v_mov_b32_e32 v16, 0xffffff80
	v_cndmask_b32_e32 v16, 0, v16, vcc
	v_cmp_class_f64_e32 vcc, v[12:13], v28
	v_ldexp_f64 v[14:15], v[14:15], v16
	v_cndmask_b32_e32 v13, v15, v13, vcc
	v_cndmask_b32_e32 v12, v14, v12, vcc
	v_div_scale_f64 v[14:15], s[0:1], v[12:13], v[12:13], v[10:11]
	v_rcp_f64_e32 v[16:17], v[14:15]
	v_fma_f64 v[18:19], -v[14:15], v[16:17], 1.0
	v_fma_f64 v[16:17], v[16:17], v[18:19], v[16:17]
	v_fma_f64 v[18:19], -v[14:15], v[16:17], 1.0
	v_fma_f64 v[16:17], v[16:17], v[18:19], v[16:17]
	v_div_scale_f64 v[18:19], vcc, v[10:11], v[12:13], v[10:11]
	v_mul_f64 v[20:21], v[18:19], v[16:17]
	v_fma_f64 v[14:15], -v[14:15], v[20:21], v[18:19]
	s_nop 1
	v_div_fmas_f64 v[14:15], v[14:15], v[16:17], v[20:21]
	v_div_fixup_f64 v[10:11], v[14:15], v[12:13], v[10:11]
	buffer_store_dword v10, off, s[96:99], 0 offset:40 ; 4-byte Folded Spill
	s_nop 0
	buffer_store_dword v11, off, s[96:99], 0 offset:44 ; 4-byte Folded Spill
	v_div_scale_f64 v[10:11], s[0:1], v[12:13], v[12:13], v[8:9]
	v_rcp_f64_e32 v[14:15], v[10:11]
	v_fma_f64 v[16:17], -v[10:11], v[14:15], 1.0
	v_fma_f64 v[14:15], v[14:15], v[16:17], v[14:15]
	v_fma_f64 v[16:17], -v[10:11], v[14:15], 1.0
	v_fma_f64 v[14:15], v[14:15], v[16:17], v[14:15]
	v_div_scale_f64 v[16:17], vcc, v[8:9], v[12:13], v[8:9]
	v_mul_f64 v[18:19], v[16:17], v[14:15]
	v_fma_f64 v[10:11], -v[10:11], v[18:19], v[16:17]
	buffer_load_dword v16, off, s[96:99], 0 offset:520 ; 4-byte Folded Reload
	buffer_load_dword v17, off, s[96:99], 0 offset:524 ; 4-byte Folded Reload
	v_div_fmas_f64 v[10:11], v[10:11], v[14:15], v[18:19]
	v_div_fixup_f64 v[18:19], v[10:11], v[12:13], v[8:9]
	buffer_store_dword v18, off, s[96:99], 0 offset:48 ; 4-byte Folded Spill
	s_nop 0
	buffer_store_dword v19, off, s[96:99], 0 offset:52 ; 4-byte Folded Spill
	s_waitcnt vmcnt(2)
	v_mul_f64 v[6:7], v[16:17], v[46:47]
	v_mul_f64 v[6:7], v[6:7], v[12:13]
	v_fma_f64 v[0:1], v[0:1], v[24:25], -v[6:7]
	v_mul_f64 v[0:1], v[2:3], v[0:1]
	v_div_scale_f64 v[6:7], s[0:1], v[4:5], v[4:5], v[0:1]
	v_rcp_f64_e32 v[8:9], v[6:7]
	v_fma_f64 v[10:11], -v[6:7], v[8:9], 1.0
	v_fma_f64 v[8:9], v[8:9], v[10:11], v[8:9]
	v_fma_f64 v[10:11], -v[6:7], v[8:9], 1.0
	v_fma_f64 v[8:9], v[8:9], v[10:11], v[8:9]
	v_div_scale_f64 v[10:11], vcc, v[0:1], v[4:5], v[0:1]
	v_mul_f64 v[14:15], v[10:11], v[8:9]
	v_fma_f64 v[6:7], -v[6:7], v[14:15], v[10:11]
	s_nop 1
	v_div_fmas_f64 v[6:7], v[6:7], v[8:9], v[14:15]
	v_div_fixup_f64 v[0:1], v[6:7], v[4:5], v[0:1]
	v_div_scale_f64 v[4:5], s[0:1], v[12:13], v[12:13], v[0:1]
	v_rcp_f64_e32 v[6:7], v[4:5]
	v_fma_f64 v[8:9], -v[4:5], v[6:7], 1.0
	v_fma_f64 v[6:7], v[6:7], v[8:9], v[6:7]
	v_fma_f64 v[8:9], -v[4:5], v[6:7], 1.0
	v_fma_f64 v[6:7], v[6:7], v[8:9], v[6:7]
	v_div_scale_f64 v[8:9], vcc, v[0:1], v[12:13], v[0:1]
	v_mul_f64 v[10:11], v[8:9], v[6:7]
	v_fma_f64 v[4:5], -v[4:5], v[10:11], v[8:9]
	s_nop 1
	v_div_fmas_f64 v[4:5], v[4:5], v[6:7], v[10:11]
	v_div_fixup_f64 v[12:13], v[4:5], v[12:13], v[0:1]
	v_mul_f64 v[0:1], v[18:19], v[18:19]
	v_mul_f64 v[56:57], v[12:13], v[12:13]
	v_fma_f64 v[0:1], v[60:61], v[2:3], v[0:1]
	v_div_scale_f64 v[4:5], s[0:1], v[2:3], v[2:3], v[56:57]
	s_mov_b64 s[0:1], 0
	v_writelane_b32 v63, s0, 12
	v_writelane_b32 v63, s1, 13
	s_mov_b32 s1, 0x3feccccc
	v_writelane_b32 v63, s0, 14
	v_writelane_b32 v63, s1, 15
	s_mov_b32 s1, 0x3fb99999
	;; [unrolled: 3-line block ×3, first 2 shown]
	v_writelane_b32 v63, s0, 18
	v_writelane_b32 v63, s1, 19
	v_rcp_f64_e32 v[6:7], v[4:5]
	v_fma_f64 v[8:9], -v[4:5], v[6:7], 1.0
	v_fma_f64 v[6:7], v[6:7], v[8:9], v[6:7]
	v_fma_f64 v[8:9], -v[4:5], v[6:7], 1.0
	v_fma_f64 v[6:7], v[6:7], v[8:9], v[6:7]
	v_div_scale_f64 v[8:9], vcc, v[56:57], v[2:3], v[56:57]
	v_mul_f64 v[10:11], v[8:9], v[6:7]
	v_fma_f64 v[4:5], -v[4:5], v[10:11], v[8:9]
	s_nop 1
	v_div_fmas_f64 v[4:5], v[4:5], v[6:7], v[10:11]
	v_mov_b32_e32 v10, 0
	v_mov_b32_e32 v11, 0x3fe00000
	v_div_fixup_f64 v[2:3], v[4:5], v[2:3], v[56:57]
	v_add_f64 v[0:1], v[0:1], v[2:3]
	buffer_store_dword v0, off, s[96:99], 0 offset:64 ; 4-byte Folded Spill
	s_nop 0
	buffer_store_dword v1, off, s[96:99], 0 offset:68 ; 4-byte Folded Spill
	buffer_load_dword v0, off, s[96:99], 0 offset:16 ; 4-byte Folded Reload
	s_nop 0
	buffer_load_dword v1, off, s[96:99], 0 offset:72 ; 4-byte Folded Reload
	s_waitcnt lgkmcnt(0)
	v_mov_b32_e32 v3, s39
	s_waitcnt vmcnt(0)
	v_lshl_add_u32 v0, v1, 10, v0
	v_lshl_add_u32 v0, v0, 1, v0
	v_mov_b32_e32 v1, v30
	v_lshlrev_b64 v[1:2], 3, v[0:1]
	v_add_co_u32_e32 v1, vcc, s38, v1
	v_addc_co_u32_e32 v2, vcc, v3, v2, vcc
	buffer_load_dword v3, off, s[96:99], 0  ; 4-byte Folded Reload
	buffer_load_dword v4, off, s[96:99], 0 offset:4 ; 4-byte Folded Reload
	s_waitcnt vmcnt(0)
	global_store_dwordx2 v[1:2], v[3:4], off
	v_add_u32_e32 v1, 1, v0
	v_mov_b32_e32 v2, v30
	v_lshlrev_b64 v[1:2], 3, v[1:2]
	v_mov_b32_e32 v3, s39
	v_add_co_u32_e32 v1, vcc, s38, v1
	v_addc_co_u32_e32 v2, vcc, v3, v2, vcc
	buffer_load_dword v3, off, s[96:99], 0 offset:80 ; 4-byte Folded Reload
	buffer_load_dword v4, off, s[96:99], 0 offset:84 ; 4-byte Folded Reload
	v_add_u32_e32 v0, 2, v0
	s_waitcnt vmcnt(0)
	global_store_dwordx2 v[1:2], v[3:4], off
	v_mov_b32_e32 v1, v30
	v_lshlrev_b64 v[0:1], 3, v[0:1]
	v_add_co_u32_e32 v2, vcc, s38, v0
	v_mov_b32_e32 v0, s39
	v_addc_co_u32_e32 v3, vcc, v0, v1, vcc
	buffer_store_dword v2, off, s[96:99], 0 offset:528 ; 4-byte Folded Spill
	s_nop 0
	buffer_store_dword v3, off, s[96:99], 0 offset:532 ; 4-byte Folded Spill
	s_mov_b32 s39, 0x3ff921fb
	global_store_dwordx2 v[2:3], v[30:31], off
	buffer_store_dword v12, off, s[96:99], 0 offset:336 ; 4-byte Folded Spill
	s_nop 0
	buffer_store_dword v13, off, s[96:99], 0 offset:340 ; 4-byte Folded Spill
	v_mul_f64 v[0:1], v[16:17], v[12:13]
	buffer_store_dword v0, off, s[96:99], 0 offset:144 ; 4-byte Folded Spill
	s_nop 0
	buffer_store_dword v1, off, s[96:99], 0 offset:148 ; 4-byte Folded Spill
	v_mov_b32_e32 v0, 0x9037ab78
	v_mov_b32_e32 v1, 0x3e21eeb6
	buffer_store_dword v0, off, s[96:99], 0 offset:456 ; 4-byte Folded Spill
	s_nop 0
	buffer_store_dword v1, off, s[96:99], 0 offset:460 ; 4-byte Folded Spill
	v_mov_b32_e32 v0, 0xb42fdfa7
	v_mov_b32_e32 v1, 0xbe5ae600
	;; [unrolled: 5-line block ×4, first 2 shown]
	buffer_store_dword v0, off, s[96:99], 0 offset:512 ; 4-byte Folded Spill
	s_nop 0
	buffer_store_dword v1, off, s[96:99], 0 offset:516 ; 4-byte Folded Spill
                                        ; implicit-def: $sgpr2_sgpr3
                                        ; implicit-def: $sgpr0_sgpr1
                                        ; kill: killed $sgpr0_sgpr1
	buffer_store_dword v56, off, s[96:99], 0 offset:136 ; 4-byte Folded Spill
	s_nop 0
	buffer_store_dword v57, off, s[96:99], 0 offset:140 ; 4-byte Folded Spill
	s_branch .LBB0_78
.LBB0_77:                               ;   in Loop: Header=BB0_78 Depth=1
	s_or_b64 exec, exec, s[2:3]
	buffer_load_dword v6, off, s[96:99], 0 offset:48 ; 4-byte Folded Reload
	buffer_load_dword v7, off, s[96:99], 0 offset:52 ; 4-byte Folded Reload
	;; [unrolled: 1-line block ×4, first 2 shown]
	s_mov_b32 s2, 0x43b990ee
	s_mov_b32 s3, 0x3fb90ee6
	v_readlane_b32 s6, v63, 12
	s_and_b64 s[0:1], exec, s[0:1]
	v_readlane_b32 s7, v63, 13
	s_or_b64 s[6:7], s[0:1], s[6:7]
	v_readlane_b32 s0, v63, 20
	v_readlane_b32 s1, v63, 21
	v_writelane_b32 v63, s20, 22
	v_writelane_b32 v63, s21, 23
	s_andn2_b64 s[0:1], s[0:1], exec
	v_mov_b32_e32 v51, v9
	v_writelane_b32 v63, s6, 12
	v_mov_b32_e32 v50, v8
	v_writelane_b32 v63, s7, 13
	s_waitcnt vmcnt(0)
	v_fma_f64 v[6:7], v[0:1], s[2:3], v[6:7]
	buffer_load_dword v16, off, s[96:99], 0 offset:40 ; 4-byte Folded Reload
	buffer_load_dword v17, off, s[96:99], 0 offset:44 ; 4-byte Folded Reload
	buffer_load_dword v0, off, s[96:99], 0 offset:72 ; 4-byte Folded Reload
	buffer_load_dword v1, off, s[96:99], 0 offset:76 ; 4-byte Folded Reload
	s_waitcnt vmcnt(0)
	v_fma_f64 v[16:17], v[0:1], s[2:3], v[16:17]
	buffer_load_dword v18, off, s[96:99], 0 offset:480 ; 4-byte Folded Reload
	buffer_load_dword v19, off, s[96:99], 0 offset:484 ; 4-byte Folded Reload
	buffer_load_dword v0, off, s[96:99], 0 offset:440 ; 4-byte Folded Reload
	buffer_load_dword v1, off, s[96:99], 0 offset:444 ; 4-byte Folded Reload
	s_waitcnt vmcnt(0)
	v_fma_f64 v[18:19], v[0:1], s[2:3], v[18:19]
	buffer_load_dword v20, off, s[96:99], 0 offset:472 ; 4-byte Folded Reload
	buffer_load_dword v21, off, s[96:99], 0 offset:476 ; 4-byte Folded Reload
	buffer_load_dword v0, off, s[96:99], 0 offset:432 ; 4-byte Folded Reload
	buffer_load_dword v1, off, s[96:99], 0 offset:436 ; 4-byte Folded Reload
	s_waitcnt vmcnt(0)
	v_fma_f64 v[20:21], v[0:1], s[2:3], v[20:21]
	buffer_load_dword v0, off, s[96:99], 0 offset:88 ; 4-byte Folded Reload
	buffer_load_dword v1, off, s[96:99], 0 offset:92 ; 4-byte Folded Reload
	s_mov_b32 s2, 0x2e2bb280
	s_mov_b32 s3, 0x3fd9c3d0
	s_waitcnt vmcnt(0)
	v_fma_f64 v[6:7], v[0:1], s[2:3], v[6:7]
	buffer_load_dword v0, off, s[96:99], 0 offset:128 ; 4-byte Folded Reload
	buffer_load_dword v1, off, s[96:99], 0 offset:132 ; 4-byte Folded Reload
	s_waitcnt vmcnt(0)
	v_fma_f64 v[16:17], v[0:1], s[2:3], v[16:17]
	buffer_load_dword v0, off, s[96:99], 0 offset:448 ; 4-byte Folded Reload
	buffer_load_dword v1, off, s[96:99], 0 offset:452 ; 4-byte Folded Reload
	;; [unrolled: 4-line block ×4, first 2 shown]
	s_mov_b32 s2, 0x76166929
	s_mov_b32 s3, 0x3fcaef9f
	s_waitcnt vmcnt(0)
	v_fma_f64 v[6:7], v[0:1], s[2:3], v[6:7]
	buffer_load_dword v0, off, s[96:99], 0 offset:112 ; 4-byte Folded Reload
	buffer_load_dword v1, off, s[96:99], 0 offset:116 ; 4-byte Folded Reload
	s_waitcnt vmcnt(0)
	v_fma_f64 v[0:1], v[0:1], s[2:3], v[16:17]
	buffer_load_dword v16, off, s[96:99], 0 offset:320 ; 4-byte Folded Reload
	buffer_load_dword v17, off, s[96:99], 0 offset:324 ; 4-byte Folded Reload
	;; [unrolled: 4-line block ×3, first 2 shown]
	s_waitcnt vmcnt(0)
	v_fma_f64 v[18:19], v[18:19], s[2:3], v[20:21]
	s_mov_b32 s2, 0x85dab4b0
	s_mov_b32 s3, 0x3fd280a6
	v_fma_f64 v[6:7], v[14:15], s[2:3], v[6:7]
	v_fma_f64 v[0:1], v[12:13], s[2:3], v[0:1]
	buffer_store_dword v6, off, s[96:99], 0 offset:48 ; 4-byte Folded Spill
	s_nop 0
	buffer_store_dword v7, off, s[96:99], 0 offset:52 ; 4-byte Folded Spill
	buffer_store_dword v0, off, s[96:99], 0 offset:40 ; 4-byte Folded Spill
	s_nop 0
	buffer_store_dword v1, off, s[96:99], 0 offset:44 ; 4-byte Folded Spill
	v_fma_f64 v[0:1], v[4:5], s[2:3], v[16:17]
	buffer_store_dword v0, off, s[96:99], 0 offset:480 ; 4-byte Folded Spill
	s_nop 0
	buffer_store_dword v1, off, s[96:99], 0 offset:484 ; 4-byte Folded Spill
	v_fma_f64 v[0:1], v[2:3], s[2:3], v[18:19]
	s_and_b64 s[2:3], s[20:21], exec
	s_or_b64 s[2:3], s[0:1], s[2:3]
	buffer_store_dword v0, off, s[96:99], 0 offset:472 ; 4-byte Folded Spill
	s_nop 0
	buffer_store_dword v1, off, s[96:99], 0 offset:476 ; 4-byte Folded Spill
	s_andn2_b64 exec, exec, s[6:7]
	s_cbranch_execz .LBB0_146
.LBB0_78:                               ; =>This Loop Header: Depth=1
                                        ;     Child Loop BB0_90 Depth 2
	v_writelane_b32 v63, s2, 20
	v_writelane_b32 v63, s3, 21
	v_trig_preop_f64 v[12:13], |v[50:51]|, 0
	v_trig_preop_f64 v[6:7], |v[50:51]|, 1
	;; [unrolled: 1-line block ×3, first 2 shown]
	v_cmp_nlt_f64_e64 s[2:3], |v[50:51]|, s[92:93]
	v_ldexp_f64 v[14:15], |v[50:51]|, s33
	buffer_store_dword v50, off, s[96:99], 0 offset:24 ; 4-byte Folded Spill
	s_nop 0
	buffer_store_dword v51, off, s[96:99], 0 offset:28 ; 4-byte Folded Spill
                                        ; implicit-def: $vgpr19
                                        ; implicit-def: $vgpr2_vgpr3
                                        ; implicit-def: $vgpr4_vgpr5
	v_and_b32_e32 v20, 0x7fffffff, v51
	s_and_saveexec_b64 s[0:1], s[2:3]
	s_xor_b64 s[6:7], exec, s[0:1]
	s_cbranch_execz .LBB0_80
; %bb.79:                               ;   in Loop: Header=BB0_78 Depth=1
	buffer_load_dword v2, off, s[96:99], 0 offset:24 ; 4-byte Folded Reload
	buffer_load_dword v3, off, s[96:99], 0 offset:28 ; 4-byte Folded Reload
	s_mov_b32 s0, 0
	s_mov_b32 s1, 0x7ff00000
	s_mov_b32 s38, s40
	s_mov_b32 s45, s43
	s_waitcnt vmcnt(0)
	v_cmp_ge_f64_e64 vcc, |v[2:3]|, s[94:95]
	v_cndmask_b32_e32 v9, v20, v15, vcc
	v_cndmask_b32_e32 v8, v2, v14, vcc
	v_mul_f64 v[18:19], v[12:13], v[8:9]
	v_mul_f64 v[2:3], v[6:7], v[8:9]
	;; [unrolled: 1-line block ×3, first 2 shown]
	v_fma_f64 v[21:22], v[12:13], v[8:9], -v[18:19]
	v_add_f64 v[23:24], v[2:3], v[21:22]
	v_add_f64 v[27:28], v[23:24], -v[2:3]
	v_add_f64 v[25:26], v[18:19], v[23:24]
	v_add_f64 v[21:22], v[21:22], -v[27:28]
	v_add_f64 v[27:28], v[23:24], -v[27:28]
	v_ldexp_f64 v[4:5], v[25:26], -2
	v_add_f64 v[27:28], v[2:3], -v[27:28]
	v_fract_f64_e32 v[16:17], v[4:5]
	v_cmp_neq_f64_e64 vcc, |v[4:5]|, s[0:1]
	v_add_f64 v[21:22], v[21:22], v[27:28]
	v_fma_f64 v[27:28], v[6:7], v[8:9], -v[2:3]
	v_add_f64 v[2:3], v[25:26], -v[18:19]
	v_ldexp_f64 v[16:17], v[16:17], 2
	v_fma_f64 v[8:9], v[0:1], v[8:9], -v[31:32]
	v_add_f64 v[33:34], v[31:32], v[27:28]
	v_add_f64 v[18:19], v[23:24], -v[2:3]
	v_cndmask_b32_e32 v5, 0, v17, vcc
	v_cndmask_b32_e32 v4, 0, v16, vcc
	v_add_f64 v[35:36], v[33:34], v[21:22]
	v_add_f64 v[23:24], v[35:36], -v[33:34]
	v_add_f64 v[2:3], v[18:19], v[35:36]
	v_add_f64 v[21:22], v[21:22], -v[23:24]
	v_add_f64 v[23:24], v[35:36], -v[23:24]
	v_add_f64 v[16:17], v[2:3], v[4:5]
	v_add_f64 v[18:19], v[2:3], -v[18:19]
	v_add_f64 v[23:24], v[33:34], -v[23:24]
	v_cmp_gt_f64_e32 vcc, 0, v[16:17]
	v_mov_b32_e32 v16, 0x40100000
	v_add_f64 v[18:19], v[35:36], -v[18:19]
	v_add_f64 v[21:22], v[21:22], v[23:24]
	v_add_f64 v[23:24], v[33:34], -v[31:32]
	v_add_f64 v[25:26], v[27:28], -v[23:24]
	;; [unrolled: 1-line block ×4, first 2 shown]
	v_cndmask_b32_e32 v31, 0, v16, vcc
	v_add_f64 v[4:5], v[4:5], v[30:31]
	v_add_f64 v[23:24], v[25:26], v[23:24]
	;; [unrolled: 1-line block ×6, first 2 shown]
	v_cvt_i32_f64_e32 v18, v[16:17]
	v_cvt_f64_i32_e32 v[16:17], v18
	v_add_f64 v[4:5], v[4:5], -v[16:17]
	v_add_f64 v[16:17], v[2:3], v[4:5]
	v_add_f64 v[4:5], v[16:17], -v[4:5]
	v_cmp_le_f64_e32 vcc, 0.5, v[16:17]
	v_add_f64 v[2:3], v[2:3], -v[4:5]
	v_mov_b32_e32 v4, 0x3ff00000
	v_cndmask_b32_e32 v31, 0, v4, vcc
	v_add_f64 v[4:5], v[16:17], -v[30:31]
	v_addc_co_u32_e64 v19, s[0:1], 0, v18, vcc
	v_add_f64 v[2:3], v[8:9], v[2:3]
	v_add_f64 v[8:9], v[4:5], v[2:3]
	v_add_f64 v[4:5], v[8:9], -v[4:5]
	v_add_f64 v[2:3], v[2:3], -v[4:5]
	v_mul_f64 v[4:5], v[8:9], s[38:39]
	v_fma_f64 v[16:17], v[8:9], s[38:39], -v[4:5]
	v_fma_f64 v[8:9], v[8:9], s[44:45], v[16:17]
	v_fma_f64 v[8:9], v[2:3], s[38:39], v[8:9]
	v_add_f64 v[2:3], v[4:5], v[8:9]
	v_add_f64 v[4:5], v[2:3], -v[4:5]
	v_add_f64 v[4:5], v[8:9], -v[4:5]
	s_andn2_saveexec_b64 s[0:1], s[6:7]
	s_cbranch_execz .LBB0_82
	s_branch .LBB0_81
.LBB0_80:                               ;   in Loop: Header=BB0_78 Depth=1
	s_andn2_saveexec_b64 s[0:1], s[6:7]
	s_cbranch_execz .LBB0_82
.LBB0_81:                               ;   in Loop: Header=BB0_78 Depth=1
	buffer_load_dword v4, off, s[96:99], 0 offset:24 ; 4-byte Folded Reload
	buffer_load_dword v5, off, s[96:99], 0 offset:28 ; 4-byte Folded Reload
	s_mov_b32 s42, s48
	s_waitcnt vmcnt(0)
	v_mul_f64 v[2:3], |v[4:5]|, s[46:47]
	v_rndne_f64_e32 v[8:9], v[2:3]
	v_fma_f64 v[2:3], v[8:9], s[40:41], |v[4:5]|
	v_mul_f64 v[4:5], v[8:9], s[48:49]
	v_fma_f64 v[21:22], v[8:9], s[48:49], v[2:3]
	v_add_f64 v[16:17], v[2:3], v[4:5]
	v_add_f64 v[18:19], v[2:3], -v[16:17]
	v_add_f64 v[16:17], v[16:17], -v[21:22]
	v_add_f64 v[2:3], v[18:19], v[4:5]
	v_fma_f64 v[4:5], v[8:9], s[42:43], v[4:5]
	v_cvt_i32_f64_e32 v19, v[8:9]
	v_add_f64 v[2:3], v[16:17], v[2:3]
	v_add_f64 v[2:3], v[2:3], -v[4:5]
	v_fma_f64 v[4:5], v[8:9], s[50:51], v[2:3]
	v_add_f64 v[2:3], v[21:22], v[4:5]
	v_add_f64 v[16:17], v[2:3], -v[21:22]
	v_add_f64 v[4:5], v[4:5], -v[16:17]
.LBB0_82:                               ;   in Loop: Header=BB0_78 Depth=1
	s_or_b64 exec, exec, s[0:1]
                                        ; implicit-def: $vgpr18
                                        ; implicit-def: $vgpr8_vgpr9
                                        ; implicit-def: $vgpr16_vgpr17
	s_and_saveexec_b64 s[0:1], s[2:3]
	s_xor_b64 s[2:3], exec, s[0:1]
	s_cbranch_execz .LBB0_84
; %bb.83:                               ;   in Loop: Header=BB0_78 Depth=1
	buffer_load_dword v8, off, s[96:99], 0 offset:24 ; 4-byte Folded Reload
	buffer_load_dword v9, off, s[96:99], 0 offset:28 ; 4-byte Folded Reload
	s_mov_b32 s0, 0
	s_mov_b32 s1, 0x7ff00000
	;; [unrolled: 1-line block ×4, first 2 shown]
	s_waitcnt vmcnt(0)
	v_cmp_ge_f64_e64 vcc, |v[8:9]|, s[94:95]
	v_cndmask_b32_e32 v15, v20, v15, vcc
	v_cndmask_b32_e32 v14, v8, v14, vcc
	v_mul_f64 v[20:21], v[12:13], v[14:15]
	v_mul_f64 v[16:17], v[6:7], v[14:15]
	v_fma_f64 v[22:23], v[12:13], v[14:15], -v[20:21]
	v_add_f64 v[24:25], v[16:17], v[22:23]
	v_add_f64 v[28:29], v[24:25], -v[16:17]
	v_add_f64 v[26:27], v[20:21], v[24:25]
	v_add_f64 v[22:23], v[22:23], -v[28:29]
	v_add_f64 v[28:29], v[24:25], -v[28:29]
	v_ldexp_f64 v[8:9], v[26:27], -2
	v_add_f64 v[28:29], v[16:17], -v[28:29]
	v_fma_f64 v[16:17], v[6:7], v[14:15], -v[16:17]
	v_add_f64 v[6:7], v[26:27], -v[20:21]
	v_fract_f64_e32 v[12:13], v[8:9]
	v_cmp_neq_f64_e64 vcc, |v[8:9]|, s[0:1]
	v_add_f64 v[22:23], v[22:23], v[28:29]
	v_mul_f64 v[28:29], v[0:1], v[14:15]
	v_add_f64 v[20:21], v[24:25], -v[6:7]
	v_ldexp_f64 v[12:13], v[12:13], 2
	v_add_f64 v[31:32], v[28:29], v[16:17]
	v_fma_f64 v[0:1], v[0:1], v[14:15], -v[28:29]
	v_cndmask_b32_e32 v9, 0, v13, vcc
	v_cndmask_b32_e32 v8, 0, v12, vcc
	v_add_f64 v[33:34], v[31:32], v[22:23]
	v_add_f64 v[24:25], v[33:34], -v[31:32]
	v_add_f64 v[6:7], v[20:21], v[33:34]
	v_add_f64 v[22:23], v[22:23], -v[24:25]
	v_add_f64 v[24:25], v[33:34], -v[24:25]
	v_add_f64 v[12:13], v[6:7], v[8:9]
	v_add_f64 v[20:21], v[6:7], -v[20:21]
	v_add_f64 v[24:25], v[31:32], -v[24:25]
	v_cmp_gt_f64_e32 vcc, 0, v[12:13]
	v_mov_b32_e32 v12, 0x40100000
	v_add_f64 v[20:21], v[33:34], -v[20:21]
	v_add_f64 v[22:23], v[22:23], v[24:25]
	v_add_f64 v[24:25], v[31:32], -v[28:29]
	v_add_f64 v[16:17], v[16:17], -v[24:25]
	;; [unrolled: 1-line block ×3, first 2 shown]
	v_cndmask_b32_e32 v31, 0, v12, vcc
	v_add_f64 v[8:9], v[8:9], v[30:31]
	v_add_f64 v[24:25], v[28:29], -v[24:25]
	v_add_f64 v[12:13], v[6:7], v[8:9]
	v_add_f64 v[16:17], v[16:17], v[24:25]
	v_cvt_i32_f64_e32 v14, v[12:13]
	v_cvt_f64_i32_e32 v[12:13], v14
	v_add_f64 v[16:17], v[16:17], v[22:23]
	v_add_f64 v[8:9], v[8:9], -v[12:13]
	v_add_f64 v[0:1], v[0:1], v[16:17]
	v_add_f64 v[12:13], v[6:7], v[8:9]
	;; [unrolled: 1-line block ×3, first 2 shown]
	v_add_f64 v[8:9], v[12:13], -v[8:9]
	v_cmp_le_f64_e32 vcc, 0.5, v[12:13]
	v_add_f64 v[6:7], v[6:7], -v[8:9]
	v_addc_co_u32_e64 v18, s[0:1], 0, v14, vcc
	v_add_f64 v[0:1], v[0:1], v[6:7]
	v_mov_b32_e32 v6, 0x3ff00000
	v_cndmask_b32_e32 v31, 0, v6, vcc
	v_add_f64 v[6:7], v[12:13], -v[30:31]
	v_add_f64 v[8:9], v[6:7], v[0:1]
	v_add_f64 v[6:7], v[8:9], -v[6:7]
	v_add_f64 v[0:1], v[0:1], -v[6:7]
	v_mul_f64 v[6:7], v[8:9], s[38:39]
	v_fma_f64 v[12:13], v[8:9], s[38:39], -v[6:7]
	v_fma_f64 v[8:9], v[8:9], s[44:45], v[12:13]
	v_fma_f64 v[0:1], v[0:1], s[38:39], v[8:9]
	v_add_f64 v[8:9], v[6:7], v[0:1]
	v_add_f64 v[6:7], v[8:9], -v[6:7]
	v_add_f64 v[16:17], v[0:1], -v[6:7]
	s_andn2_saveexec_b64 s[0:1], s[2:3]
	s_cbranch_execnz .LBB0_85
	s_branch .LBB0_86
.LBB0_84:                               ;   in Loop: Header=BB0_78 Depth=1
	s_andn2_saveexec_b64 s[0:1], s[2:3]
	s_cbranch_execz .LBB0_86
.LBB0_85:                               ;   in Loop: Header=BB0_78 Depth=1
	buffer_load_dword v6, off, s[96:99], 0 offset:24 ; 4-byte Folded Reload
	buffer_load_dword v7, off, s[96:99], 0 offset:28 ; 4-byte Folded Reload
	s_mov_b32 s42, s48
	s_waitcnt vmcnt(0)
	v_mul_f64 v[0:1], |v[6:7]|, s[46:47]
	v_rndne_f64_e32 v[0:1], v[0:1]
	v_fma_f64 v[6:7], v[0:1], s[40:41], |v[6:7]|
	v_mul_f64 v[8:9], v[0:1], s[48:49]
	v_cvt_i32_f64_e32 v18, v[0:1]
	v_add_f64 v[12:13], v[6:7], v[8:9]
	v_add_f64 v[14:15], v[6:7], -v[12:13]
	v_fma_f64 v[6:7], v[0:1], s[48:49], v[6:7]
	v_add_f64 v[14:15], v[14:15], v[8:9]
	v_add_f64 v[12:13], v[12:13], -v[6:7]
	v_fma_f64 v[8:9], v[0:1], s[42:43], v[8:9]
	;; [unrolled: 3-line block ×3, first 2 shown]
	v_add_f64 v[8:9], v[6:7], v[12:13]
	v_add_f64 v[6:7], v[8:9], -v[6:7]
	v_add_f64 v[16:17], v[12:13], -v[6:7]
.LBB0_86:                               ;   in Loop: Header=BB0_78 Depth=1
	s_or_b64 exec, exec, s[0:1]
	v_and_b32_e32 v0, 1, v19
	v_cmp_eq_u32_e64 s[0:1], 0, v0
	v_mul_f64 v[0:1], v[2:3], v[2:3]
	s_mov_b32 s2, 0xb42fdfa7
	s_mov_b32 s3, 0xbe5ae600
	v_mov_b32_e32 v7, s3
	v_mov_b32_e32 v6, s2
	v_mul_f64 v[20:21], v[4:5], 0.5
	s_mov_b32 s30, s18
	buffer_load_dword v28, off, s[96:99], 0 offset:24 ; 4-byte Folded Reload
	buffer_load_dword v29, off, s[96:99], 0 offset:28 ; 4-byte Folded Reload
	v_fma_f64 v[14:15], v[0:1], s[22:23], v[6:7]
	v_mul_f64 v[12:13], v[2:3], -v[0:1]
	s_mov_b32 s2, 0x9037ab78
	s_mov_b32 s3, 0x3e21eeb6
	v_mul_f64 v[24:25], v[0:1], v[0:1]
	buffer_load_dword v31, off, s[96:99], 0 offset:56 ; 4-byte Folded Reload
	buffer_load_dword v32, off, s[96:99], 0 offset:60 ; 4-byte Folded Reload
	s_mov_b64 s[20:21], 0
	v_fma_f64 v[14:15], v[0:1], v[14:15], s[24:25]
	v_fma_f64 v[14:15], v[0:1], v[14:15], s[26:27]
	;; [unrolled: 1-line block ×4, first 2 shown]
	v_mul_f64 v[20:21], v[0:1], 0.5
	v_fma_f64 v[14:15], v[0:1], v[14:15], -v[4:5]
	v_add_f64 v[22:23], -v[20:21], 1.0
	v_fma_f64 v[12:13], v[12:13], s[30:31], v[14:15]
	v_add_f64 v[14:15], v[2:3], -v[12:13]
	v_mov_b32_e32 v13, s3
	v_mov_b32_e32 v12, s2
	v_fma_f64 v[26:27], v[0:1], s[10:11], v[12:13]
	v_fma_f64 v[26:27], v[0:1], v[26:27], s[12:13]
	;; [unrolled: 1-line block ×3, first 2 shown]
	s_waitcnt vmcnt(2)
	v_cmp_class_f64_e64 vcc, v[28:29], s60
	v_fma_f64 v[26:27], v[0:1], v[26:27], s[16:17]
	v_fma_f64 v[0:1], v[0:1], v[26:27], s[18:19]
	v_add_f64 v[26:27], -v[22:23], 1.0
	v_add_f64 v[20:21], v[26:27], -v[20:21]
	buffer_load_dword v26, off, s[96:99], 0 offset:32 ; 4-byte Folded Reload
	buffer_load_dword v27, off, s[96:99], 0 offset:36 ; 4-byte Folded Reload
	buffer_load_dword v33, off, s[96:99], 0 offset:40 ; 4-byte Folded Reload
	buffer_load_dword v34, off, s[96:99], 0 offset:44 ; 4-byte Folded Reload
	buffer_load_dword v35, off, s[96:99], 0 offset:48 ; 4-byte Folded Reload
	buffer_load_dword v36, off, s[96:99], 0 offset:52 ; 4-byte Folded Reload
	buffer_load_dword v37, off, s[96:99], 0 offset:336 ; 4-byte Folded Reload
	buffer_load_dword v38, off, s[96:99], 0 offset:340 ; 4-byte Folded Reload
	v_fma_f64 v[2:3], v[2:3], -v[4:5], v[20:21]
	v_mul_f64 v[4:5], v[8:9], v[8:9]
	v_fma_f64 v[0:1], v[24:25], v[0:1], v[2:3]
	v_lshlrev_b32_e32 v2, 30, v19
	v_xor_b32_e32 v2, v2, v29
	v_and_b32_e32 v2, 0x80000000, v2
	v_fma_f64 v[12:13], v[4:5], s[10:11], v[12:13]
	v_fma_f64 v[6:7], v[4:5], s[22:23], v[6:7]
	v_add_f64 v[0:1], v[22:23], v[0:1]
	v_fma_f64 v[12:13], v[4:5], v[12:13], s[12:13]
	v_fma_f64 v[6:7], v[4:5], v[6:7], s[24:25]
	v_cndmask_b32_e64 v1, v1, v15, s[0:1]
	v_xor_b32_e32 v1, v1, v2
	v_mul_f64 v[2:3], v[4:5], 0.5
	v_cndmask_b32_e64 v0, v0, v14, s[0:1]
	v_fma_f64 v[12:13], v[4:5], v[12:13], s[14:15]
	v_fma_f64 v[6:7], v[4:5], v[6:7], s[26:27]
	v_cndmask_b32_e32 v0, 0, v0, vcc
	v_cndmask_b32_e32 v1, v62, v1, vcc
	v_add_f64 v[14:15], -v[2:3], 1.0
	v_fma_f64 v[12:13], v[4:5], v[12:13], s[16:17]
	v_fma_f64 v[6:7], v[4:5], v[6:7], s[28:29]
	v_add_f64 v[19:20], -v[14:15], 1.0
	v_fma_f64 v[12:13], v[4:5], v[12:13], s[18:19]
	v_add_f64 v[2:3], v[19:20], -v[2:3]
	v_mul_f64 v[19:20], v[4:5], v[4:5]
	v_fma_f64 v[2:3], v[8:9], -v[16:17], v[2:3]
	v_fma_f64 v[2:3], v[19:20], v[12:13], v[2:3]
	v_mul_f64 v[12:13], v[8:9], -v[4:5]
	v_add_f64 v[2:3], v[14:15], v[2:3]
	v_mul_f64 v[14:15], v[16:17], 0.5
	v_fma_f64 v[6:7], v[12:13], v[6:7], v[14:15]
	v_fma_f64 v[4:5], v[4:5], v[6:7], -v[16:17]
	v_and_b32_e32 v6, 1, v18
	v_cmp_eq_u32_e64 s[0:1], 0, v6
	v_fma_f64 v[4:5], v[12:13], s[30:31], v[4:5]
	v_add_f64 v[4:5], v[8:9], -v[4:5]
	s_waitcnt vmcnt(6)
	v_add_f64 v[8:9], v[26:27], v[26:27]
	v_xor_b32_e32 v5, 0x80000000, v5
	v_cndmask_b32_e64 v2, v4, v2, s[0:1]
	v_lshlrev_b32_e32 v4, 30, v18
	v_cndmask_b32_e64 v3, v5, v3, s[0:1]
	v_and_b32_e32 v4, 0x80000000, v4
	v_xor_b32_e32 v3, v3, v4
	v_cndmask_b32_e32 v6, 0, v2, vcc
	v_cndmask_b32_e32 v7, v62, v3, vcc
	v_mul_f64 v[2:3], v[0:1], v[0:1]
	v_cmp_gt_f64_e64 s[0:1], s[52:53], v[0:1]
	v_mov_b32_e32 v4, 0x3c9cd2b2
	v_cndmask_b32_e64 v3, v3, v4, s[0:1]
	v_mov_b32_e32 v4, 0x97d889bc
	v_cndmask_b32_e64 v2, v2, v4, s[0:1]
	v_mul_f64 v[4:5], v[6:7], v[6:7]
	v_mul_f64 v[4:5], v[31:32], v[4:5]
	v_fma_f64 v[12:13], v[26:27], v[26:27], v[4:5]
	v_fma_f64 v[4:5], v[26:27], v[26:27], -v[8:9]
	v_add_f64 v[16:17], v[31:32], v[4:5]
	v_mul_f64 v[4:5], v[16:17], v[12:13]
	s_waitcnt vmcnt(4)
	v_mul_f64 v[16:17], v[16:17], -v[33:34]
	v_div_scale_f64 v[14:15], s[2:3], v[4:5], v[4:5], 1.0
	v_rcp_f64_e32 v[18:19], v[14:15]
	v_fma_f64 v[20:21], -v[14:15], v[18:19], 1.0
	v_fma_f64 v[18:19], v[18:19], v[20:21], v[18:19]
	v_fma_f64 v[20:21], -v[14:15], v[18:19], 1.0
	v_fma_f64 v[18:19], v[18:19], v[20:21], v[18:19]
	v_div_scale_f64 v[20:21], vcc, 1.0, v[4:5], 1.0
	v_mul_f64 v[22:23], v[20:21], v[18:19]
	v_fma_f64 v[14:15], -v[14:15], v[22:23], v[20:21]
	s_nop 1
	v_div_fmas_f64 v[14:15], v[14:15], v[18:19], v[22:23]
	v_div_fixup_f64 v[14:15], v[14:15], v[4:5], 1.0
	v_div_scale_f64 v[4:5], s[2:3], v[12:13], v[12:13], 1.0
	v_rcp_f64_e32 v[18:19], v[4:5]
	v_fma_f64 v[20:21], -v[4:5], v[18:19], 1.0
	v_fma_f64 v[18:19], v[18:19], v[20:21], v[18:19]
	v_fma_f64 v[20:21], -v[4:5], v[18:19], 1.0
	v_fma_f64 v[18:19], v[18:19], v[20:21], v[18:19]
	v_div_scale_f64 v[20:21], vcc, 1.0, v[12:13], 1.0
	v_mul_f64 v[22:23], v[20:21], v[18:19]
	v_fma_f64 v[4:5], -v[4:5], v[22:23], v[20:21]
	s_nop 1
	v_div_fmas_f64 v[4:5], v[4:5], v[18:19], v[22:23]
	v_div_fixup_f64 v[4:5], v[4:5], v[12:13], 1.0
	v_fma_f64 v[12:13], v[26:27], -2.0, v[12:13]
	v_mul_f64 v[39:40], v[16:17], v[4:5]
	s_waitcnt vmcnt(0)
	v_mul_f64 v[12:13], v[37:38], v[12:13]
	v_mul_f64 v[16:17], s[8:9], v[8:9]
	v_mul_f64 v[41:42], v[4:5], -v[35:36]
	v_div_scale_f64 v[18:19], s[2:3], v[2:3], v[2:3], v[12:13]
	v_rcp_f64_e32 v[20:21], v[18:19]
	v_fma_f64 v[22:23], -v[18:19], v[20:21], 1.0
	v_fma_f64 v[20:21], v[20:21], v[22:23], v[20:21]
	v_fma_f64 v[22:23], -v[18:19], v[20:21], 1.0
	v_fma_f64 v[20:21], v[20:21], v[22:23], v[20:21]
	v_div_scale_f64 v[22:23], vcc, v[12:13], v[2:3], v[12:13]
	v_mul_f64 v[24:25], v[22:23], v[20:21]
	v_fma_f64 v[18:19], -v[18:19], v[24:25], v[22:23]
	s_nop 1
	v_div_fmas_f64 v[18:19], v[18:19], v[20:21], v[24:25]
	v_div_fixup_f64 v[12:13], v[18:19], v[2:3], v[12:13]
	v_mul_f64 v[2:3], v[2:3], v[2:3]
	v_fma_f64 v[12:13], s[8:9], v[8:9], v[12:13]
	v_mul_f64 v[18:19], v[14:15], -v[12:13]
	v_fma_f64 v[12:13], v[26:27], v[26:27], v[31:32]
	v_mul_f64 v[8:9], v[8:9], v[12:13]
	v_fma_f64 v[12:13], -v[37:38], v[16:17], v[8:9]
	buffer_load_dword v16, off, s[96:99], 0 offset:64 ; 4-byte Folded Reload
	buffer_load_dword v17, off, s[96:99], 0 offset:68 ; 4-byte Folded Reload
	v_fma_f64 v[20:21], v[12:13], v[14:15], 1.0
	v_add_f64 v[12:13], v[26:27], -1.0
	s_waitcnt vmcnt(0)
	v_fma_f64 v[8:9], -v[16:17], v[12:13], v[8:9]
	buffer_load_dword v16, off, s[96:99], 0 offset:144 ; 4-byte Folded Reload
	buffer_load_dword v17, off, s[96:99], 0 offset:148 ; 4-byte Folded Reload
	s_nop 0
	buffer_store_dword v39, off, s[96:99], 0 offset:328 ; 4-byte Folded Spill
	s_nop 0
	buffer_store_dword v40, off, s[96:99], 0 offset:332 ; 4-byte Folded Spill
	s_waitcnt vmcnt(2)
	v_add_f64 v[8:9], v[8:9], -v[16:17]
	v_add_f64 v[16:17], v[33:34], v[33:34]
	v_mul_f64 v[16:17], v[33:34], v[16:17]
	v_mul_f64 v[12:13], v[12:13], v[16:17]
	;; [unrolled: 1-line block ×3, first 2 shown]
	v_fma_f64 v[16:17], v[8:9], v[14:15], -v[12:13]
	v_mov_b32_e32 v8, 0x3e45798e
	v_cndmask_b32_e64 v1, v1, v8, s[0:1]
	v_mov_b32_e32 v8, 0xe2308c3a
	v_cndmask_b32_e64 v0, v0, v8, s[0:1]
	v_mul_f64 v[0:1], -v[0:1], v[6:7]
	v_div_scale_f64 v[6:7], s[0:1], v[2:3], v[2:3], v[56:57]
	s_mov_b32 s0, 0xd2f1a9fc
	s_mov_b32 s1, 0x3f50624d
	v_rcp_f64_e32 v[8:9], v[6:7]
	v_fma_f64 v[12:13], -v[6:7], v[8:9], 1.0
	v_fma_f64 v[8:9], v[8:9], v[12:13], v[8:9]
	v_fma_f64 v[12:13], -v[6:7], v[8:9], 1.0
	v_fma_f64 v[8:9], v[8:9], v[12:13], v[8:9]
	v_div_scale_f64 v[12:13], vcc, v[56:57], v[2:3], v[56:57]
	v_mul_f64 v[14:15], v[12:13], v[8:9]
	v_fma_f64 v[6:7], -v[6:7], v[14:15], v[12:13]
	s_nop 1
	v_div_fmas_f64 v[6:7], v[6:7], v[8:9], v[14:15]
	v_div_fixup_f64 v[2:3], v[6:7], v[2:3], v[56:57]
	v_add_f64 v[2:3], v[2:3], -v[31:32]
	v_mul_f64 v[0:1], v[2:3], v[0:1]
	v_mul_f64 v[4:5], v[0:1], v[4:5]
	;; [unrolled: 1-line block ×3, first 2 shown]
	v_add_f64 v[0:1], |v[26:27]|, |v[0:1]|
	v_add_f64 v[0:1], v[0:1], s[0:1]
	buffer_store_dword v0, off, s[96:99], 0 offset:384 ; 4-byte Folded Spill
	s_nop 0
	buffer_store_dword v1, off, s[96:99], 0 offset:388 ; 4-byte Folded Spill
	buffer_store_dword v41, off, s[96:99], 0 offset:344 ; 4-byte Folded Spill
	s_nop 0
	buffer_store_dword v42, off, s[96:99], 0 offset:348 ; 4-byte Folded Spill
	v_mul_f64 v[0:1], v[10:11], v[41:42]
	v_add_f64 v[0:1], |v[28:29]|, |v[0:1]|
	v_add_f64 v[0:1], v[0:1], s[0:1]
	buffer_store_dword v0, off, s[96:99], 0 offset:392 ; 4-byte Folded Spill
	s_nop 0
	buffer_store_dword v1, off, s[96:99], 0 offset:396 ; 4-byte Folded Spill
	buffer_store_dword v18, off, s[96:99], 0 offset:352 ; 4-byte Folded Spill
	s_nop 0
	buffer_store_dword v19, off, s[96:99], 0 offset:356 ; 4-byte Folded Spill
	buffer_load_dword v2, off, s[96:99], 0 offset:472 ; 4-byte Folded Reload
	buffer_load_dword v3, off, s[96:99], 0 offset:476 ; 4-byte Folded Reload
	v_mul_f64 v[0:1], v[10:11], v[18:19]
	s_waitcnt vmcnt(0)
	v_add_f64 v[0:1], |v[2:3]|, |v[0:1]|
	v_add_f64 v[0:1], v[0:1], s[0:1]
	buffer_store_dword v0, off, s[96:99], 0 offset:400 ; 4-byte Folded Spill
	s_nop 0
	buffer_store_dword v1, off, s[96:99], 0 offset:404 ; 4-byte Folded Spill
	buffer_store_dword v20, off, s[96:99], 0 offset:360 ; 4-byte Folded Spill
	s_nop 0
	buffer_store_dword v21, off, s[96:99], 0 offset:364 ; 4-byte Folded Spill
	buffer_load_dword v2, off, s[96:99], 0 offset:480 ; 4-byte Folded Reload
	buffer_load_dword v3, off, s[96:99], 0 offset:484 ; 4-byte Folded Reload
	v_mul_f64 v[0:1], v[10:11], -v[20:21]
	s_waitcnt vmcnt(0)
	v_add_f64 v[0:1], |v[2:3]|, |v[0:1]|
	v_add_f64 v[0:1], v[0:1], s[0:1]
	buffer_store_dword v0, off, s[96:99], 0 offset:408 ; 4-byte Folded Spill
	s_nop 0
	buffer_store_dword v1, off, s[96:99], 0 offset:412 ; 4-byte Folded Spill
	buffer_store_dword v16, off, s[96:99], 0 offset:368 ; 4-byte Folded Spill
	s_nop 0
	buffer_store_dword v17, off, s[96:99], 0 offset:372 ; 4-byte Folded Spill
	v_mul_f64 v[0:1], v[10:11], -v[16:17]
	v_add_f64 v[0:1], |v[33:34]|, |v[0:1]|
	v_add_f64 v[0:1], v[0:1], s[0:1]
	buffer_store_dword v0, off, s[96:99], 0 offset:416 ; 4-byte Folded Spill
	s_nop 0
	buffer_store_dword v1, off, s[96:99], 0 offset:420 ; 4-byte Folded Spill
	buffer_store_dword v4, off, s[96:99], 0 offset:376 ; 4-byte Folded Spill
	s_nop 0
	buffer_store_dword v5, off, s[96:99], 0 offset:380 ; 4-byte Folded Spill
	v_mul_f64 v[0:1], v[10:11], v[4:5]
	v_add_f64 v[0:1], |v[35:36]|, |v[0:1]|
	v_add_f64 v[0:1], v[0:1], s[0:1]
	buffer_store_dword v0, off, s[96:99], 0 offset:424 ; 4-byte Folded Spill
	s_nop 0
	buffer_store_dword v1, off, s[96:99], 0 offset:428 ; 4-byte Folded Spill
	s_branch .LBB0_90
.LBB0_87:                               ;   in Loop: Header=BB0_90 Depth=2
	s_or_b64 exec, exec, s[6:7]
.LBB0_88:                               ;   in Loop: Header=BB0_90 Depth=2
	s_or_b64 exec, exec, s[2:3]
	s_xor_b64 s[2:3], exec, -1
.LBB0_89:                               ;   in Loop: Header=BB0_90 Depth=2
	s_or_b64 exec, exec, s[0:1]
	s_and_b64 s[0:1], exec, s[2:3]
	s_or_b64 s[20:21], s[0:1], s[20:21]
	v_mov_b32_e32 v62, 0x7ff80000
	s_andn2_b64 exec, exec, s[20:21]
	s_cbranch_execz .LBB0_138
.LBB0_90:                               ;   Parent Loop BB0_78 Depth=1
                                        ; =>  This Inner Loop Header: Depth=2
	buffer_load_dword v0, off, s[96:99], 0 offset:344 ; 4-byte Folded Reload
	buffer_load_dword v1, off, s[96:99], 0 offset:348 ; 4-byte Folded Reload
	s_nop 0
	buffer_store_dword v10, off, s[96:99], 0 ; 4-byte Folded Spill
	s_nop 0
	buffer_store_dword v11, off, s[96:99], 0 offset:4 ; 4-byte Folded Spill
                                        ; implicit-def: $vgpr38
                                        ; implicit-def: $vgpr14_vgpr15
                                        ; implicit-def: $vgpr20_vgpr21
	s_waitcnt vmcnt(2)
	v_mul_f64 v[59:60], v[0:1], v[10:11]
	buffer_load_dword v0, off, s[96:99], 0 offset:24 ; 4-byte Folded Reload
	buffer_load_dword v1, off, s[96:99], 0 offset:28 ; 4-byte Folded Reload
	s_waitcnt vmcnt(0)
	v_fma_f64 v[3:4], v[59:60], s[64:65], v[0:1]
	v_trig_preop_f64 v[7:8], |v[3:4]|, 0
	v_trig_preop_f64 v[5:6], |v[3:4]|, 1
	;; [unrolled: 1-line block ×3, first 2 shown]
	v_cmp_nlt_f64_e64 s[2:3], |v[3:4]|, s[92:93]
	v_ldexp_f64 v[9:10], |v[3:4]|, s33
	v_and_b32_e32 v2, 0x7fffffff, v4
	s_and_saveexec_b64 s[0:1], s[2:3]
	s_xor_b64 s[6:7], exec, s[0:1]
	s_cbranch_execz .LBB0_92
; %bb.91:                               ;   in Loop: Header=BB0_90 Depth=2
	v_cmp_ge_f64_e64 vcc, |v[3:4]|, s[94:95]
	s_mov_b32 s0, 0
	s_mov_b32 s1, 0x7ff00000
	;; [unrolled: 1-line block ×4, first 2 shown]
	v_cndmask_b32_e32 v16, v2, v10, vcc
	v_cndmask_b32_e32 v15, v3, v9, vcc
	v_mul_f64 v[19:20], v[7:8], v[15:16]
	v_mul_f64 v[11:12], v[5:6], v[15:16]
	;; [unrolled: 1-line block ×3, first 2 shown]
	v_fma_f64 v[21:22], v[7:8], v[15:16], -v[19:20]
	v_add_f64 v[23:24], v[11:12], v[21:22]
	v_add_f64 v[27:28], v[23:24], -v[11:12]
	v_add_f64 v[25:26], v[19:20], v[23:24]
	v_add_f64 v[21:22], v[21:22], -v[27:28]
	v_add_f64 v[27:28], v[23:24], -v[27:28]
	v_ldexp_f64 v[13:14], v[25:26], -2
	v_add_f64 v[27:28], v[11:12], -v[27:28]
	v_fract_f64_e32 v[17:18], v[13:14]
	v_cmp_neq_f64_e64 vcc, |v[13:14]|, s[0:1]
	v_add_f64 v[21:22], v[21:22], v[27:28]
	v_fma_f64 v[27:28], v[5:6], v[15:16], -v[11:12]
	v_add_f64 v[11:12], v[25:26], -v[19:20]
	v_ldexp_f64 v[17:18], v[17:18], 2
	v_fma_f64 v[15:16], v[0:1], v[15:16], -v[31:32]
	v_add_f64 v[33:34], v[31:32], v[27:28]
	v_add_f64 v[19:20], v[23:24], -v[11:12]
	v_cndmask_b32_e32 v14, 0, v18, vcc
	v_cndmask_b32_e32 v13, 0, v17, vcc
	v_add_f64 v[35:36], v[33:34], v[21:22]
	v_add_f64 v[23:24], v[35:36], -v[33:34]
	v_add_f64 v[11:12], v[19:20], v[35:36]
	v_add_f64 v[21:22], v[21:22], -v[23:24]
	v_add_f64 v[23:24], v[35:36], -v[23:24]
	v_add_f64 v[17:18], v[11:12], v[13:14]
	v_add_f64 v[19:20], v[11:12], -v[19:20]
	v_add_f64 v[23:24], v[33:34], -v[23:24]
	v_cmp_gt_f64_e32 vcc, 0, v[17:18]
	v_mov_b32_e32 v17, 0x40100000
	v_add_f64 v[19:20], v[35:36], -v[19:20]
	v_add_f64 v[21:22], v[21:22], v[23:24]
	v_add_f64 v[23:24], v[33:34], -v[31:32]
	v_add_f64 v[25:26], v[27:28], -v[23:24]
	;; [unrolled: 1-line block ×4, first 2 shown]
	v_cndmask_b32_e32 v31, 0, v17, vcc
	v_add_f64 v[13:14], v[13:14], v[30:31]
	v_add_f64 v[23:24], v[25:26], v[23:24]
	;; [unrolled: 1-line block ×6, first 2 shown]
	v_cvt_i32_f64_e32 v19, v[17:18]
	v_cvt_f64_i32_e32 v[17:18], v19
	v_add_f64 v[13:14], v[13:14], -v[17:18]
	v_add_f64 v[17:18], v[11:12], v[13:14]
	v_add_f64 v[13:14], v[17:18], -v[13:14]
	v_cmp_le_f64_e32 vcc, 0.5, v[17:18]
	v_add_f64 v[11:12], v[11:12], -v[13:14]
	v_mov_b32_e32 v13, 0x3ff00000
	v_cndmask_b32_e32 v31, 0, v13, vcc
	v_add_f64 v[13:14], v[17:18], -v[30:31]
	v_addc_co_u32_e64 v38, s[0:1], 0, v19, vcc
	v_add_f64 v[11:12], v[15:16], v[11:12]
	v_add_f64 v[15:16], v[13:14], v[11:12]
	v_add_f64 v[13:14], v[15:16], -v[13:14]
	v_mul_f64 v[17:18], v[15:16], s[38:39]
	v_add_f64 v[11:12], v[11:12], -v[13:14]
	v_fma_f64 v[13:14], v[15:16], s[38:39], -v[17:18]
	v_fma_f64 v[13:14], v[15:16], s[44:45], v[13:14]
	v_fma_f64 v[11:12], v[11:12], s[38:39], v[13:14]
	v_add_f64 v[14:15], v[17:18], v[11:12]
	v_add_f64 v[16:17], v[14:15], -v[17:18]
	v_add_f64 v[20:21], v[11:12], -v[16:17]
	s_andn2_saveexec_b64 s[0:1], s[6:7]
	s_cbranch_execz .LBB0_94
	s_branch .LBB0_93
.LBB0_92:                               ;   in Loop: Header=BB0_90 Depth=2
	s_andn2_saveexec_b64 s[0:1], s[6:7]
	s_cbranch_execz .LBB0_94
.LBB0_93:                               ;   in Loop: Header=BB0_90 Depth=2
	v_mul_f64 v[11:12], |v[3:4]|, s[46:47]
	s_mov_b32 s42, s48
	v_rndne_f64_e32 v[11:12], v[11:12]
	v_fma_f64 v[13:14], v[11:12], s[40:41], |v[3:4]|
	v_mul_f64 v[15:16], v[11:12], s[48:49]
	v_cvt_i32_f64_e32 v38, v[11:12]
	v_fma_f64 v[21:22], v[11:12], s[48:49], v[13:14]
	v_add_f64 v[17:18], v[13:14], v[15:16]
	v_add_f64 v[19:20], v[13:14], -v[17:18]
	v_add_f64 v[17:18], v[17:18], -v[21:22]
	v_add_f64 v[13:14], v[19:20], v[15:16]
	v_fma_f64 v[15:16], v[11:12], s[42:43], v[15:16]
	v_add_f64 v[13:14], v[17:18], v[13:14]
	v_add_f64 v[13:14], v[13:14], -v[15:16]
	v_fma_f64 v[16:17], v[11:12], s[50:51], v[13:14]
	v_add_f64 v[14:15], v[21:22], v[16:17]
	v_add_f64 v[18:19], v[14:15], -v[21:22]
	v_add_f64 v[20:21], v[16:17], -v[18:19]
.LBB0_94:                               ;   in Loop: Header=BB0_90 Depth=2
	s_or_b64 exec, exec, s[0:1]
                                        ; implicit-def: $vgpr13
                                        ; implicit-def: $vgpr11_vgpr12
                                        ; implicit-def: $vgpr16_vgpr17
	s_and_saveexec_b64 s[0:1], s[2:3]
	s_xor_b64 s[2:3], exec, s[0:1]
	s_cbranch_execz .LBB0_96
; %bb.95:                               ;   in Loop: Header=BB0_90 Depth=2
	v_cmp_ge_f64_e64 vcc, |v[3:4]|, s[94:95]
	s_mov_b32 s0, 0
	s_mov_b32 s1, 0x7ff00000
	s_mov_b32 s38, s40
	s_mov_b32 s45, s43
	v_cndmask_b32_e32 v12, v2, v10, vcc
	v_cndmask_b32_e32 v11, v3, v9, vcc
	v_mul_f64 v[18:19], v[7:8], v[11:12]
	v_mul_f64 v[16:17], v[5:6], v[11:12]
	v_mov_b32_e32 v2, 0x40100000
	v_fma_f64 v[22:23], v[7:8], v[11:12], -v[18:19]
	v_add_f64 v[24:25], v[16:17], v[22:23]
	v_add_f64 v[28:29], v[24:25], -v[16:17]
	v_add_f64 v[26:27], v[18:19], v[24:25]
	v_add_f64 v[22:23], v[22:23], -v[28:29]
	v_add_f64 v[28:29], v[24:25], -v[28:29]
	v_ldexp_f64 v[7:8], v[26:27], -2
	v_add_f64 v[28:29], v[16:17], -v[28:29]
	v_fma_f64 v[16:17], v[5:6], v[11:12], -v[16:17]
	v_add_f64 v[5:6], v[26:27], -v[18:19]
	v_fract_f64_e32 v[9:10], v[7:8]
	v_cmp_neq_f64_e64 vcc, |v[7:8]|, s[0:1]
	v_add_f64 v[22:23], v[22:23], v[28:29]
	v_mul_f64 v[28:29], v[0:1], v[11:12]
	v_add_f64 v[18:19], v[24:25], -v[5:6]
	v_ldexp_f64 v[9:10], v[9:10], 2
	v_add_f64 v[31:32], v[28:29], v[16:17]
	v_fma_f64 v[0:1], v[0:1], v[11:12], -v[28:29]
	v_cndmask_b32_e32 v8, 0, v10, vcc
	v_cndmask_b32_e32 v7, 0, v9, vcc
	v_add_f64 v[33:34], v[31:32], v[22:23]
	v_add_f64 v[24:25], v[33:34], -v[31:32]
	v_add_f64 v[5:6], v[18:19], v[33:34]
	v_add_f64 v[22:23], v[22:23], -v[24:25]
	v_add_f64 v[24:25], v[33:34], -v[24:25]
	v_add_f64 v[9:10], v[5:6], v[7:8]
	v_add_f64 v[18:19], v[5:6], -v[18:19]
	v_add_f64 v[24:25], v[31:32], -v[24:25]
	v_cmp_gt_f64_e32 vcc, 0, v[9:10]
	v_add_f64 v[18:19], v[33:34], -v[18:19]
	v_add_f64 v[22:23], v[22:23], v[24:25]
	v_add_f64 v[24:25], v[31:32], -v[28:29]
	v_add_f64 v[16:17], v[16:17], -v[24:25]
	;; [unrolled: 1-line block ×3, first 2 shown]
	v_cndmask_b32_e32 v31, 0, v2, vcc
	v_add_f64 v[7:8], v[7:8], v[30:31]
	v_add_f64 v[24:25], v[28:29], -v[24:25]
	v_add_f64 v[9:10], v[5:6], v[7:8]
	v_add_f64 v[16:17], v[16:17], v[24:25]
	v_cvt_i32_f64_e32 v2, v[9:10]
	v_cvt_f64_i32_e32 v[9:10], v2
	v_add_f64 v[16:17], v[16:17], v[22:23]
	v_add_f64 v[7:8], v[7:8], -v[9:10]
	v_add_f64 v[0:1], v[0:1], v[16:17]
	v_add_f64 v[9:10], v[5:6], v[7:8]
	;; [unrolled: 1-line block ×3, first 2 shown]
	v_add_f64 v[7:8], v[9:10], -v[7:8]
	v_cmp_le_f64_e32 vcc, 0.5, v[9:10]
	v_add_f64 v[5:6], v[5:6], -v[7:8]
	v_addc_co_u32_e64 v13, s[0:1], 0, v2, vcc
	v_mov_b32_e32 v2, 0x3ff00000
	v_cndmask_b32_e32 v31, 0, v2, vcc
	v_add_f64 v[0:1], v[0:1], v[5:6]
	v_add_f64 v[5:6], v[9:10], -v[30:31]
	v_add_f64 v[7:8], v[5:6], v[0:1]
	v_add_f64 v[5:6], v[7:8], -v[5:6]
	v_add_f64 v[0:1], v[0:1], -v[5:6]
	v_mul_f64 v[5:6], v[7:8], s[38:39]
	v_fma_f64 v[9:10], v[7:8], s[38:39], -v[5:6]
	v_fma_f64 v[7:8], v[7:8], s[44:45], v[9:10]
	v_fma_f64 v[0:1], v[0:1], s[38:39], v[7:8]
	v_add_f64 v[11:12], v[5:6], v[0:1]
	v_add_f64 v[5:6], v[11:12], -v[5:6]
	v_add_f64 v[16:17], v[0:1], -v[5:6]
	s_andn2_saveexec_b64 s[0:1], s[2:3]
	s_cbranch_execnz .LBB0_97
	s_branch .LBB0_98
.LBB0_96:                               ;   in Loop: Header=BB0_90 Depth=2
	s_andn2_saveexec_b64 s[0:1], s[2:3]
	s_cbranch_execz .LBB0_98
.LBB0_97:                               ;   in Loop: Header=BB0_90 Depth=2
	v_mul_f64 v[0:1], |v[3:4]|, s[46:47]
	s_mov_b32 s42, s48
	v_rndne_f64_e32 v[0:1], v[0:1]
	v_fma_f64 v[5:6], v[0:1], s[40:41], |v[3:4]|
	v_mul_f64 v[7:8], v[0:1], s[48:49]
	v_cvt_i32_f64_e32 v13, v[0:1]
	v_add_f64 v[9:10], v[5:6], v[7:8]
	v_add_f64 v[11:12], v[5:6], -v[9:10]
	v_fma_f64 v[5:6], v[0:1], s[48:49], v[5:6]
	v_add_f64 v[11:12], v[11:12], v[7:8]
	v_add_f64 v[9:10], v[9:10], -v[5:6]
	v_fma_f64 v[7:8], v[0:1], s[42:43], v[7:8]
	;; [unrolled: 3-line block ×3, first 2 shown]
	v_add_f64 v[11:12], v[5:6], v[7:8]
	v_add_f64 v[5:6], v[11:12], -v[5:6]
	v_add_f64 v[16:17], v[7:8], -v[5:6]
.LBB0_98:                               ;   in Loop: Header=BB0_90 Depth=2
	s_or_b64 exec, exec, s[0:1]
	buffer_load_dword v5, off, s[96:99], 0 offset:464 ; 4-byte Folded Reload
	buffer_load_dword v6, off, s[96:99], 0 offset:468 ; 4-byte Folded Reload
	;; [unrolled: 1-line block ×4, first 2 shown]
	v_mul_f64 v[0:1], v[11:12], v[11:12]
	v_mul_f64 v[22:23], v[16:17], 0.5
	s_mov_b32 s30, s18
	v_cmp_class_f64_e64 s[0:1], v[3:4], s60
	v_and_b32_e32 v2, 1, v13
	v_cmp_eq_u32_e32 vcc, 0, v2
	v_lshlrev_b32_e32 v2, 30, v13
	v_and_b32_e32 v2, 0x80000000, v2
	v_mul_f64 v[9:10], v[0:1], 0.5
	v_mul_f64 v[24:25], v[11:12], -v[0:1]
                                        ; implicit-def: $vgpr49
	v_add_f64 v[18:19], -v[9:10], 1.0
	v_add_f64 v[26:27], -v[18:19], 1.0
	v_add_f64 v[9:10], v[26:27], -v[9:10]
	v_fma_f64 v[9:10], v[11:12], -v[16:17], v[9:10]
	s_waitcnt vmcnt(2)
	v_fma_f64 v[5:6], v[0:1], s[22:23], v[5:6]
	s_waitcnt vmcnt(0)
	v_fma_f64 v[7:8], v[0:1], s[10:11], v[7:8]
	v_fma_f64 v[5:6], v[0:1], v[5:6], s[24:25]
	;; [unrolled: 1-line block ×8, first 2 shown]
	v_mul_f64 v[22:23], v[0:1], v[0:1]
	v_fma_f64 v[7:8], v[0:1], v[7:8], s[18:19]
	v_fma_f64 v[0:1], v[0:1], v[5:6], -v[16:17]
	v_fma_f64 v[5:6], v[22:23], v[7:8], v[9:10]
	buffer_load_dword v7, off, s[96:99], 0 offset:328 ; 4-byte Folded Reload
	buffer_load_dword v8, off, s[96:99], 0 offset:332 ; 4-byte Folded Reload
	buffer_load_dword v16, off, s[96:99], 0 ; 4-byte Folded Reload
	buffer_load_dword v17, off, s[96:99], 0 offset:4 ; 4-byte Folded Reload
                                        ; implicit-def: $vgpr22_vgpr23
	v_fma_f64 v[0:1], v[24:25], s[30:31], v[0:1]
	v_add_f64 v[5:6], v[18:19], v[5:6]
	v_add_f64 v[0:1], v[11:12], -v[0:1]
	v_xor_b32_e32 v1, 0x80000000, v1
	v_cndmask_b32_e32 v0, v0, v5, vcc
	v_cndmask_b32_e32 v1, v1, v6, vcc
	v_cndmask_b32_e64 v24, 0, v0, s[0:1]
	v_xor_b32_e32 v0, v1, v2
	v_cndmask_b32_e64 v25, v62, v0, s[0:1]
	v_mul_f64 v[0:1], v[24:25], v[24:25]
	s_waitcnt vmcnt(0)
	v_mul_f64 v[9:10], v[7:8], v[16:17]
	buffer_load_dword v7, off, s[96:99], 0 offset:32 ; 4-byte Folded Reload
	buffer_load_dword v8, off, s[96:99], 0 offset:36 ; 4-byte Folded Reload
	s_nop 0
	buffer_store_dword v9, off, s[96:99], 0 offset:16 ; 4-byte Folded Spill
	s_nop 0
	buffer_store_dword v10, off, s[96:99], 0 offset:20 ; 4-byte Folded Spill
	buffer_load_dword v2, off, s[96:99], 0 offset:56 ; 4-byte Folded Reload
	buffer_load_dword v3, off, s[96:99], 0 offset:60 ; 4-byte Folded Reload
	s_waitcnt vmcnt(4)
	v_fma_f64 v[10:11], v[9:10], s[64:65], v[7:8]
	v_mul_f64 v[7:8], v[10:11], v[10:11]
	s_waitcnt vmcnt(0)
	v_fma_f64 v[18:19], v[2:3], v[0:1], v[7:8]
	v_div_scale_f64 v[0:1], s[2:3], v[18:19], v[18:19], 1.0
	v_rcp_f64_e32 v[2:3], v[0:1]
	v_fma_f64 v[5:6], -v[0:1], v[2:3], 1.0
	v_fma_f64 v[2:3], v[2:3], v[5:6], v[2:3]
	v_div_scale_f64 v[5:6], vcc, 1.0, v[18:19], 1.0
	v_fma_f64 v[7:8], -v[0:1], v[2:3], 1.0
	v_fma_f64 v[2:3], v[2:3], v[7:8], v[2:3]
	v_mul_f64 v[7:8], v[5:6], v[2:3]
	v_fma_f64 v[0:1], -v[0:1], v[7:8], v[5:6]
	v_div_fmas_f64 v[0:1], v[0:1], v[2:3], v[7:8]
	buffer_load_dword v2, off, s[96:99], 0 offset:376 ; 4-byte Folded Reload
	buffer_load_dword v3, off, s[96:99], 0 offset:380 ; 4-byte Folded Reload
	v_div_fixup_f64 v[12:13], v[0:1], v[18:19], 1.0
	s_waitcnt vmcnt(0)
	v_mul_f64 v[5:6], v[2:3], v[16:17]
	buffer_load_dword v2, off, s[96:99], 0 offset:48 ; 4-byte Folded Reload
	buffer_load_dword v3, off, s[96:99], 0 offset:52 ; 4-byte Folded Reload
	s_nop 0
	buffer_store_dword v5, off, s[96:99], 0 offset:8 ; 4-byte Folded Spill
	s_nop 0
	buffer_store_dword v6, off, s[96:99], 0 offset:12 ; 4-byte Folded Spill
	s_waitcnt vmcnt(2)
	v_fma_f64 v[2:3], v[5:6], s[64:65], v[2:3]
	v_mul_f64 v[0:1], v[12:13], -v[2:3]
	buffer_load_dword v2, off, s[96:99], 0 offset:24 ; 4-byte Folded Reload
	buffer_load_dword v3, off, s[96:99], 0 offset:28 ; 4-byte Folded Reload
	v_mul_f64 v[0:1], v[16:17], v[0:1]
	buffer_store_dword v0, off, s[96:99], 0 offset:128 ; 4-byte Folded Spill
	s_nop 0
	buffer_store_dword v1, off, s[96:99], 0 offset:132 ; 4-byte Folded Spill
	s_waitcnt vmcnt(2)
	v_fma_f64 v[5:6], v[59:60], s[78:79], v[2:3]
	v_fma_f64 v[0:1], v[0:1], s[76:77], v[5:6]
                                        ; implicit-def: $vgpr6_vgpr7
	v_trig_preop_f64 v[8:9], |v[0:1]|, 0
	v_trig_preop_f64 v[28:29], |v[0:1]|, 1
	;; [unrolled: 1-line block ×3, first 2 shown]
	v_cmp_nlt_f64_e64 s[6:7], |v[0:1]|, s[92:93]
	v_ldexp_f64 v[32:33], |v[0:1]|, s33
	v_and_b32_e32 v39, 0x7fffffff, v1
	s_and_saveexec_b64 s[2:3], s[6:7]
	s_xor_b64 s[62:63], exec, s[2:3]
	s_cbranch_execz .LBB0_100
; %bb.99:                               ;   in Loop: Header=BB0_90 Depth=2
	v_cmp_ge_f64_e64 vcc, |v[0:1]|, s[94:95]
	s_mov_b32 s2, 0
	s_mov_b32 s3, 0x7ff00000
	v_mov_b32_e32 v2, 0x40100000
	s_mov_b32 s38, s40
	s_mov_b32 s45, s43
	v_cndmask_b32_e32 v35, v39, v33, vcc
	v_cndmask_b32_e32 v34, v0, v32, vcc
	v_mul_f64 v[40:41], v[8:9], v[34:35]
	v_mul_f64 v[5:6], v[28:29], v[34:35]
	;; [unrolled: 1-line block ×3, first 2 shown]
	v_fma_f64 v[42:43], v[8:9], v[34:35], -v[40:41]
	v_add_f64 v[44:45], v[5:6], v[42:43]
	v_add_f64 v[50:51], v[44:45], -v[5:6]
	v_add_f64 v[48:49], v[40:41], v[44:45]
	v_add_f64 v[42:43], v[42:43], -v[50:51]
	v_add_f64 v[50:51], v[44:45], -v[50:51]
	v_ldexp_f64 v[22:23], v[48:49], -2
	v_add_f64 v[50:51], v[5:6], -v[50:51]
	v_fract_f64_e32 v[36:37], v[22:23]
	v_cmp_neq_f64_e64 vcc, |v[22:23]|, s[2:3]
	v_add_f64 v[42:43], v[42:43], v[50:51]
	v_fma_f64 v[50:51], v[28:29], v[34:35], -v[5:6]
	v_add_f64 v[5:6], v[48:49], -v[40:41]
	v_ldexp_f64 v[36:37], v[36:37], 2
	v_fma_f64 v[34:35], v[26:27], v[34:35], -v[52:53]
	v_add_f64 v[54:55], v[52:53], v[50:51]
	v_add_f64 v[40:41], v[44:45], -v[5:6]
	v_cndmask_b32_e32 v23, 0, v37, vcc
	v_cndmask_b32_e32 v22, 0, v36, vcc
	v_add_f64 v[56:57], v[54:55], v[42:43]
	v_add_f64 v[5:6], v[40:41], v[56:57]
	v_add_f64 v[44:45], v[56:57], -v[54:55]
	v_add_f64 v[36:37], v[5:6], v[22:23]
	v_add_f64 v[42:43], v[42:43], -v[44:45]
	v_add_f64 v[44:45], v[56:57], -v[44:45]
	;; [unrolled: 1-line block ×3, first 2 shown]
	v_cmp_gt_f64_e32 vcc, 0, v[36:37]
	v_add_f64 v[44:45], v[54:55], -v[44:45]
	v_add_f64 v[40:41], v[56:57], -v[40:41]
	buffer_load_dword v56, off, s[96:99], 0 offset:136 ; 4-byte Folded Reload
	buffer_load_dword v57, off, s[96:99], 0 offset:140 ; 4-byte Folded Reload
	v_cndmask_b32_e32 v31, 0, v2, vcc
	v_add_f64 v[22:23], v[22:23], v[30:31]
	v_add_f64 v[42:43], v[42:43], v[44:45]
	v_add_f64 v[44:45], v[54:55], -v[52:53]
	v_add_f64 v[36:37], v[5:6], v[22:23]
	v_add_f64 v[48:49], v[50:51], -v[44:45]
	v_add_f64 v[44:45], v[54:55], -v[44:45]
	v_cvt_i32_f64_e32 v2, v[36:37]
	v_add_f64 v[44:45], v[52:53], -v[44:45]
	v_cvt_f64_i32_e32 v[36:37], v2
	v_add_f64 v[22:23], v[22:23], -v[36:37]
	v_add_f64 v[44:45], v[48:49], v[44:45]
	v_add_f64 v[36:37], v[5:6], v[22:23]
	v_add_f64 v[42:43], v[44:45], v[42:43]
	v_add_f64 v[22:23], v[36:37], -v[22:23]
	v_cmp_le_f64_e32 vcc, 0.5, v[36:37]
	v_add_f64 v[34:35], v[34:35], v[42:43]
	v_add_f64 v[5:6], v[5:6], -v[22:23]
	v_addc_co_u32_e64 v49, s[2:3], 0, v2, vcc
	v_add_f64 v[34:35], v[40:41], v[34:35]
	v_mov_b32_e32 v2, 0x3ff00000
	v_cndmask_b32_e32 v31, 0, v2, vcc
	v_add_f64 v[22:23], v[36:37], -v[30:31]
	v_add_f64 v[5:6], v[34:35], v[5:6]
	v_add_f64 v[34:35], v[22:23], v[5:6]
	v_add_f64 v[22:23], v[34:35], -v[22:23]
	v_add_f64 v[5:6], v[5:6], -v[22:23]
	v_mul_f64 v[22:23], v[34:35], s[38:39]
	v_fma_f64 v[36:37], v[34:35], s[38:39], -v[22:23]
	v_fma_f64 v[34:35], v[34:35], s[44:45], v[36:37]
	v_fma_f64 v[34:35], v[5:6], s[38:39], v[34:35]
	v_add_f64 v[6:7], v[22:23], v[34:35]
	v_add_f64 v[22:23], v[6:7], -v[22:23]
	v_add_f64 v[22:23], v[34:35], -v[22:23]
	s_andn2_saveexec_b64 s[2:3], s[62:63]
	s_cbranch_execz .LBB0_102
	s_branch .LBB0_101
.LBB0_100:                              ;   in Loop: Header=BB0_90 Depth=2
	s_andn2_saveexec_b64 s[2:3], s[62:63]
	s_cbranch_execz .LBB0_102
.LBB0_101:                              ;   in Loop: Header=BB0_90 Depth=2
	v_mul_f64 v[5:6], |v[0:1]|, s[46:47]
	s_mov_b32 s42, s48
	v_rndne_f64_e32 v[34:35], v[5:6]
	v_fma_f64 v[5:6], v[34:35], s[40:41], |v[0:1]|
	v_mul_f64 v[22:23], v[34:35], s[48:49]
	v_cvt_i32_f64_e32 v49, v[34:35]
	v_fma_f64 v[42:43], v[34:35], s[48:49], v[5:6]
	v_add_f64 v[36:37], v[5:6], v[22:23]
	v_add_f64 v[40:41], v[5:6], -v[36:37]
	v_add_f64 v[36:37], v[36:37], -v[42:43]
	v_add_f64 v[5:6], v[40:41], v[22:23]
	v_fma_f64 v[22:23], v[34:35], s[42:43], v[22:23]
	v_add_f64 v[5:6], v[36:37], v[5:6]
	v_add_f64 v[5:6], v[5:6], -v[22:23]
	v_fma_f64 v[22:23], v[34:35], s[50:51], v[5:6]
	v_add_f64 v[6:7], v[42:43], v[22:23]
	v_add_f64 v[36:37], v[6:7], -v[42:43]
	v_add_f64 v[22:23], v[22:23], -v[36:37]
.LBB0_102:                              ;   in Loop: Header=BB0_90 Depth=2
	s_or_b64 exec, exec, s[2:3]
                                        ; implicit-def: $vgpr42
                                        ; implicit-def: $vgpr34_vgpr35
                                        ; implicit-def: $vgpr36_vgpr37
	s_and_saveexec_b64 s[2:3], s[6:7]
	s_xor_b64 s[6:7], exec, s[2:3]
	s_cbranch_execz .LBB0_104
; %bb.103:                              ;   in Loop: Header=BB0_90 Depth=2
	v_cmp_ge_f64_e64 vcc, |v[0:1]|, s[94:95]
	s_mov_b32 s2, 0
	s_mov_b32 s3, 0x7ff00000
	v_mov_b32_e32 v2, 0x40100000
	s_mov_b32 s38, s40
	s_mov_b32 s45, s43
	v_cndmask_b32_e32 v36, v39, v33, vcc
	v_cndmask_b32_e32 v35, v0, v32, vcc
	v_mul_f64 v[41:42], v[8:9], v[35:36]
	v_mul_f64 v[39:40], v[28:29], v[35:36]
	v_fma_f64 v[8:9], v[8:9], v[35:36], -v[41:42]
	v_fma_f64 v[28:29], v[28:29], v[35:36], -v[39:40]
	v_add_f64 v[43:44], v[39:40], v[8:9]
	v_add_f64 v[52:53], v[43:44], -v[39:40]
	v_add_f64 v[50:51], v[41:42], v[43:44]
	v_add_f64 v[8:9], v[8:9], -v[52:53]
	v_add_f64 v[52:53], v[43:44], -v[52:53]
	v_ldexp_f64 v[31:32], v[50:51], -2
	v_add_f64 v[52:53], v[39:40], -v[52:53]
	v_mul_f64 v[39:40], v[26:27], v[35:36]
	v_fract_f64_e32 v[33:34], v[31:32]
	v_cmp_neq_f64_e64 vcc, |v[31:32]|, s[2:3]
	v_add_f64 v[52:53], v[8:9], v[52:53]
	v_add_f64 v[54:55], v[39:40], v[28:29]
	v_add_f64 v[8:9], v[50:51], -v[41:42]
	v_fma_f64 v[26:27], v[26:27], v[35:36], -v[39:40]
	s_waitcnt vmcnt(0)
	v_add_f64 v[56:57], v[54:55], v[52:53]
	v_add_f64 v[41:42], v[43:44], -v[8:9]
	v_add_f64 v[43:44], v[56:57], -v[54:55]
	v_add_f64 v[8:9], v[41:42], v[56:57]
	v_add_f64 v[50:51], v[52:53], -v[43:44]
	v_add_f64 v[43:44], v[56:57], -v[43:44]
	;; [unrolled: 1-line block ×5, first 2 shown]
	buffer_load_dword v56, off, s[96:99], 0 offset:136 ; 4-byte Folded Reload
	buffer_load_dword v57, off, s[96:99], 0 offset:140 ; 4-byte Folded Reload
	v_add_f64 v[43:44], v[50:51], v[43:44]
	v_add_f64 v[50:51], v[54:55], -v[39:40]
	v_add_f64 v[28:29], v[28:29], -v[50:51]
	;; [unrolled: 1-line block ×4, first 2 shown]
	v_add_f64 v[28:29], v[28:29], v[50:51]
	v_add_f64 v[28:29], v[28:29], v[43:44]
	;; [unrolled: 1-line block ×3, first 2 shown]
	v_ldexp_f64 v[28:29], v[33:34], 2
	v_add_f64 v[26:27], v[41:42], v[26:27]
	v_cndmask_b32_e32 v29, 0, v29, vcc
	v_cndmask_b32_e32 v28, 0, v28, vcc
	v_add_f64 v[31:32], v[8:9], v[28:29]
	v_cmp_gt_f64_e32 vcc, 0, v[31:32]
	v_cndmask_b32_e32 v31, 0, v2, vcc
	v_add_f64 v[28:29], v[28:29], v[30:31]
	v_add_f64 v[31:32], v[8:9], v[28:29]
	v_cvt_i32_f64_e32 v2, v[31:32]
	v_cvt_f64_i32_e32 v[31:32], v2
	v_add_f64 v[28:29], v[28:29], -v[31:32]
	v_add_f64 v[32:33], v[8:9], v[28:29]
	v_add_f64 v[28:29], v[32:33], -v[28:29]
	v_cmp_le_f64_e32 vcc, 0.5, v[32:33]
	v_add_f64 v[8:9], v[8:9], -v[28:29]
	v_addc_co_u32_e64 v42, s[2:3], 0, v2, vcc
	v_mov_b32_e32 v2, 0x3ff00000
	v_cndmask_b32_e32 v31, 0, v2, vcc
	v_add_f64 v[8:9], v[26:27], v[8:9]
	v_add_f64 v[26:27], v[32:33], -v[30:31]
	v_add_f64 v[28:29], v[26:27], v[8:9]
	v_add_f64 v[26:27], v[28:29], -v[26:27]
	v_add_f64 v[8:9], v[8:9], -v[26:27]
	v_mul_f64 v[26:27], v[28:29], s[38:39]
	v_fma_f64 v[31:32], v[28:29], s[38:39], -v[26:27]
	v_fma_f64 v[28:29], v[28:29], s[44:45], v[31:32]
	v_fma_f64 v[8:9], v[8:9], s[38:39], v[28:29]
	v_add_f64 v[34:35], v[26:27], v[8:9]
	v_add_f64 v[26:27], v[34:35], -v[26:27]
	v_add_f64 v[36:37], v[8:9], -v[26:27]
	s_andn2_saveexec_b64 s[2:3], s[6:7]
	s_cbranch_execnz .LBB0_105
	s_branch .LBB0_106
.LBB0_104:                              ;   in Loop: Header=BB0_90 Depth=2
	s_andn2_saveexec_b64 s[2:3], s[6:7]
	s_cbranch_execz .LBB0_106
.LBB0_105:                              ;   in Loop: Header=BB0_90 Depth=2
	v_mul_f64 v[8:9], |v[0:1]|, s[46:47]
	s_mov_b32 s42, s48
	v_rndne_f64_e32 v[8:9], v[8:9]
	v_fma_f64 v[26:27], v[8:9], s[40:41], |v[0:1]|
	v_mul_f64 v[28:29], v[8:9], s[48:49]
	v_cvt_i32_f64_e32 v42, v[8:9]
	v_add_f64 v[31:32], v[26:27], v[28:29]
	v_add_f64 v[33:34], v[26:27], -v[31:32]
	v_fma_f64 v[26:27], v[8:9], s[48:49], v[26:27]
	v_add_f64 v[33:34], v[33:34], v[28:29]
	v_add_f64 v[31:32], v[31:32], -v[26:27]
	v_fma_f64 v[28:29], v[8:9], s[42:43], v[28:29]
	;; [unrolled: 3-line block ×3, first 2 shown]
	v_add_f64 v[34:35], v[26:27], v[28:29]
	v_add_f64 v[26:27], v[34:35], -v[26:27]
	v_add_f64 v[36:37], v[28:29], -v[26:27]
.LBB0_106:                              ;   in Loop: Header=BB0_90 Depth=2
	s_or_b64 exec, exec, s[2:3]
	v_mul_f64 v[8:9], v[14:15], v[14:15]
	s_mov_b32 s2, 0xb42fdfa7
	s_mov_b32 s3, 0xbe5ae600
	v_mul_f64 v[43:44], v[20:21], 0.5
	v_lshlrev_b32_e32 v2, 30, v38
	s_mov_b32 s30, s18
	v_xor_b32_e32 v2, v2, v4
	v_and_b32_e32 v3, 1, v38
	v_mul_f64 v[26:27], v[8:9], 0.5
	v_mul_f64 v[50:51], v[14:15], -v[8:9]
	v_cmp_eq_u32_e32 vcc, 0, v3
	v_and_b32_e32 v2, 0x80000000, v2
	s_mov_b32 s70, s78
	s_mov_b32 s72, s76
	s_mov_b32 s74, s78
                                        ; implicit-def: $vgpr48
	v_add_f64 v[28:29], -v[26:27], 1.0
	v_add_f64 v[31:32], -v[28:29], 1.0
	v_add_f64 v[26:27], v[31:32], -v[26:27]
	v_mov_b32_e32 v32, s3
	v_mov_b32_e32 v31, s2
	v_fma_f64 v[39:40], v[8:9], s[22:23], v[31:32]
	s_mov_b32 s2, 0x9037ab78
	s_mov_b32 s3, 0x3e21eeb6
	v_fma_f64 v[26:27], v[14:15], -v[20:21], v[26:27]
	v_fma_f64 v[39:40], v[8:9], v[39:40], s[24:25]
	v_fma_f64 v[39:40], v[8:9], v[39:40], s[26:27]
	;; [unrolled: 1-line block ×4, first 2 shown]
	v_fma_f64 v[20:21], v[8:9], v[39:40], -v[20:21]
	v_mov_b32_e32 v40, s3
	v_mov_b32_e32 v39, s2
	v_fma_f64 v[43:44], v[8:9], s[10:11], v[39:40]
	v_fma_f64 v[4:5], v[50:51], s[30:31], v[20:21]
	v_mul_f64 v[20:21], v[34:35], v[34:35]
	v_fma_f64 v[43:44], v[8:9], v[43:44], s[12:13]
	v_add_f64 v[4:5], v[14:15], -v[4:5]
	v_fma_f64 v[14:15], v[20:21], s[10:11], v[39:40]
	v_fma_f64 v[43:44], v[8:9], v[43:44], s[14:15]
	;; [unrolled: 1-line block ×6, first 2 shown]
	v_mul_f64 v[8:9], v[8:9], v[8:9]
	v_fma_f64 v[14:15], v[20:21], v[14:15], s[16:17]
	v_fma_f64 v[8:9], v[8:9], v[43:44], v[26:27]
	v_mul_f64 v[26:27], v[20:21], 0.5
	v_fma_f64 v[14:15], v[20:21], v[14:15], s[18:19]
	v_add_f64 v[8:9], v[28:29], v[8:9]
	v_add_f64 v[43:44], -v[26:27], 1.0
	v_fma_f64 v[28:29], v[20:21], s[22:23], v[31:32]
	v_cndmask_b32_e32 v3, v8, v4, vcc
	v_add_f64 v[50:51], -v[43:44], 1.0
	v_fma_f64 v[28:29], v[20:21], v[28:29], s[24:25]
	v_cndmask_b32_e32 v4, v9, v5, vcc
	v_xor_b32_e32 v2, v4, v2
	v_cndmask_b32_e64 v4, 0, v3, s[0:1]
	v_cndmask_b32_e64 v5, v62, v2, s[0:1]
	v_mul_f64 v[8:9], v[20:21], v[20:21]
	v_mul_f64 v[31:32], v[4:5], v[4:5]
	v_add_f64 v[26:27], v[50:51], -v[26:27]
	v_cmp_gt_f64_e64 s[2:3], s[52:53], v[4:5]
	v_fma_f64 v[28:29], v[20:21], v[28:29], s[26:27]
	v_mov_b32_e32 v2, 0x3c9cd2b2
	v_fma_f64 v[26:27], v[34:35], -v[36:37], v[26:27]
	v_fma_f64 v[28:29], v[20:21], v[28:29], s[28:29]
	v_fma_f64 v[8:9], v[8:9], v[14:15], v[26:27]
	v_cndmask_b32_e64 v27, v32, v2, s[2:3]
	v_mov_b32_e32 v2, 0x97d889bc
	v_cndmask_b32_e64 v26, v31, v2, s[2:3]
	v_mul_f64 v[14:15], v[36:37], 0.5
	v_mul_f64 v[31:32], v[34:35], -v[20:21]
	v_mul_f64 v[26:27], v[26:27], v[26:27]
	buffer_load_dword v45, off, s[96:99], 0 ; 4-byte Folded Reload
	buffer_load_dword v46, off, s[96:99], 0 offset:4 ; 4-byte Folded Reload
	buffer_load_dword v2, off, s[96:99], 0 offset:368 ; 4-byte Folded Reload
	;; [unrolled: 1-line block ×3, first 2 shown]
	v_add_f64 v[8:9], v[43:44], v[8:9]
	v_fma_f64 v[14:15], v[31:32], v[28:29], v[14:15]
	s_waitcnt vmcnt(4)
	v_div_scale_f64 v[28:29], s[0:1], v[26:27], v[26:27], v[56:57]
	v_cmp_class_f64_e64 s[0:1], v[0:1], s60
	v_lshlrev_b32_e32 v0, 30, v42
	v_and_b32_e32 v0, 0x80000000, v0
	v_fma_f64 v[14:15], v[20:21], v[14:15], -v[36:37]
	v_fma_f64 v[14:15], v[31:32], s[30:31], v[14:15]
	v_rcp_f64_e32 v[20:21], v[28:29]
	v_add_f64 v[14:15], v[34:35], -v[14:15]
	v_fma_f64 v[36:37], -v[28:29], v[20:21], 1.0
	v_fma_f64 v[20:21], v[20:21], v[36:37], v[20:21]
	v_fma_f64 v[36:37], -v[28:29], v[20:21], 1.0
	v_fma_f64 v[20:21], v[20:21], v[36:37], v[20:21]
	v_div_scale_f64 v[36:37], vcc, v[56:57], v[26:27], v[56:57]
	s_waitcnt vmcnt(0)
	v_mul_f64 v[16:17], v[45:46], -v[2:3]
	v_mul_f64 v[38:39], v[36:37], v[20:21]
	v_mul_f64 v[2:3], v[10:11], v[10:11]
	v_fma_f64 v[28:29], -v[28:29], v[38:39], v[36:37]
	v_fma_f64 v[36:37], v[10:11], -2.0, v[2:3]
	buffer_load_dword v2, off, s[96:99], 0 offset:40 ; 4-byte Folded Reload
	buffer_load_dword v3, off, s[96:99], 0 offset:44 ; 4-byte Folded Reload
	s_nop 0
	buffer_store_dword v16, off, s[96:99], 0 offset:72 ; 4-byte Folded Spill
	s_nop 0
	buffer_store_dword v17, off, s[96:99], 0 offset:76 ; 4-byte Folded Spill
	v_div_fmas_f64 v[20:21], v[28:29], v[20:21], v[38:39]
	v_div_fixup_f64 v[20:21], v[20:21], v[26:27], v[56:57]
                                        ; implicit-def: $vgpr26_vgpr27
	s_waitcnt vmcnt(2)
	v_fma_f64 v[28:29], v[16:17], s[64:65], v[2:3]
	buffer_load_dword v16, off, s[96:99], 0 offset:56 ; 4-byte Folded Reload
	buffer_load_dword v17, off, s[96:99], 0 offset:60 ; 4-byte Folded Reload
	v_and_b32_e32 v2, 1, v42
	v_cmp_eq_u32_e32 vcc, 0, v2
	v_xor_b32_e32 v3, 0x80000000, v15
	v_cndmask_b32_e32 v2, v14, v8, vcc
	v_cndmask_b32_e32 v3, v3, v9, vcc
	v_xor_b32_e32 v0, v3, v0
	s_waitcnt vmcnt(0)
	v_add_f64 v[32:33], v[16:17], v[36:37]
	buffer_load_dword v14, off, s[96:99], 0 offset:32 ; 4-byte Folded Reload
	buffer_load_dword v15, off, s[96:99], 0 offset:36 ; 4-byte Folded Reload
	;; [unrolled: 1-line block ×4, first 2 shown]
	v_add_f64 v[20:21], v[20:21], -v[16:17]
	v_mul_f64 v[34:35], v[32:33], -v[28:29]
	v_mul_f64 v[34:35], v[34:35], v[12:13]
	v_mul_f64 v[34:35], v[45:46], v[34:35]
	buffer_store_dword v34, off, s[96:99], 0 offset:104 ; 4-byte Folded Spill
	s_nop 0
	buffer_store_dword v35, off, s[96:99], 0 offset:108 ; 4-byte Folded Spill
	s_waitcnt vmcnt(2)
	v_fma_f64 v[14:15], v[36:37], s[78:79], v[14:15]
	v_fma_f64 v[40:41], v[34:35], s[76:77], v[14:15]
	v_cndmask_b32_e64 v14, 0, v2, s[0:1]
	v_cndmask_b32_e64 v15, v62, v0, s[0:1]
	v_mul_f64 v[8:9], v[14:15], v[14:15]
	v_mov_b32_e32 v0, 0x3e45798e
	v_cndmask_b32_e64 v5, v5, v0, s[2:3]
	v_mov_b32_e32 v0, 0xe2308c3a
	v_cndmask_b32_e64 v4, v4, v0, s[2:3]
	v_mul_f64 v[34:35], v[40:41], v[40:41]
	v_mul_f64 v[4:5], -v[4:5], v[24:25]
	v_fma_f64 v[42:43], v[16:17], v[8:9], v[34:35]
	buffer_load_dword v2, off, s[96:99], 0 offset:48 ; 4-byte Folded Reload
	buffer_load_dword v3, off, s[96:99], 0 offset:52 ; 4-byte Folded Reload
	;; [unrolled: 1-line block ×4, first 2 shown]
	v_mul_f64 v[4:5], v[20:21], v[4:5]
	v_div_scale_f64 v[8:9], s[6:7], v[42:43], v[42:43], 1.0
	v_mul_f64 v[4:5], v[4:5], v[12:13]
	v_rcp_f64_e32 v[34:35], v[8:9]
	v_fma_f64 v[36:37], -v[8:9], v[34:35], 1.0
	v_fma_f64 v[34:35], v[34:35], v[36:37], v[34:35]
	v_fma_f64 v[36:37], -v[8:9], v[34:35], 1.0
	v_fma_f64 v[34:35], v[34:35], v[36:37], v[34:35]
	v_div_scale_f64 v[36:37], vcc, 1.0, v[42:43], 1.0
	buffer_store_dword v42, off, s[96:99], 0 offset:168 ; 4-byte Folded Spill
	s_nop 0
	buffer_store_dword v43, off, s[96:99], 0 offset:172 ; 4-byte Folded Spill
	s_waitcnt vmcnt(2)
	v_fma_f64 v[20:21], v[16:17], s[78:79], v[2:3]
	v_mul_f64 v[2:3], v[45:46], v[4:5]
	buffer_store_dword v2, off, s[96:99], 0 offset:112 ; 4-byte Folded Spill
	s_nop 0
	buffer_store_dword v3, off, s[96:99], 0 offset:116 ; 4-byte Folded Spill
	v_mul_f64 v[38:39], v[36:37], v[34:35]
	v_fma_f64 v[8:9], -v[8:9], v[38:39], v[36:37]
	v_div_fmas_f64 v[8:9], v[8:9], v[34:35], v[38:39]
	v_div_fixup_f64 v[52:53], v[8:9], v[42:43], 1.0
	v_fma_f64 v[4:5], v[2:3], s[76:77], v[20:21]
	buffer_load_dword v2, off, s[96:99], 0 offset:24 ; 4-byte Folded Reload
	buffer_load_dword v3, off, s[96:99], 0 offset:28 ; 4-byte Folded Reload
                                        ; implicit-def: $vgpr20_vgpr21
	v_mul_f64 v[4:5], v[52:53], -v[4:5]
	s_waitcnt vmcnt(0)
	v_fma_f64 v[8:9], v[59:60], s[70:71], v[2:3]
	buffer_load_dword v2, off, s[96:99], 0 offset:128 ; 4-byte Folded Reload
	buffer_load_dword v3, off, s[96:99], 0 offset:132 ; 4-byte Folded Reload
	s_waitcnt vmcnt(0)
	v_fma_f64 v[8:9], v[2:3], s[72:73], v[8:9]
	v_mul_f64 v[2:3], v[45:46], v[4:5]
	buffer_store_dword v2, off, s[96:99], 0 offset:80 ; 4-byte Folded Spill
	s_nop 0
	buffer_store_dword v3, off, s[96:99], 0 offset:84 ; 4-byte Folded Spill
	v_fma_f64 v[4:5], v[2:3], s[74:75], v[8:9]
	v_trig_preop_f64 v[38:39], |v[4:5]|, 0
	v_trig_preop_f64 v[8:9], |v[4:5]|, 1
	;; [unrolled: 1-line block ×3, first 2 shown]
	v_cmp_nlt_f64_e64 s[6:7], |v[4:5]|, s[92:93]
	v_ldexp_f64 v[42:43], |v[4:5]|, s33
	v_and_b32_e32 v0, 0x7fffffff, v5
	s_mov_b64 s[2:3], exec
	s_and_b64 vcc, s[2:3], s[6:7]
	s_xor_b64 s[62:63], vcc, s[2:3]
	buffer_store_dword v59, off, s[96:99], 0 offset:152 ; 4-byte Folded Spill
	s_nop 0
	buffer_store_dword v60, off, s[96:99], 0 offset:156 ; 4-byte Folded Spill
	s_mov_b64 exec, vcc
	s_cbranch_execz .LBB0_108
; %bb.107:                              ;   in Loop: Header=BB0_90 Depth=2
	v_cmp_ge_f64_e64 vcc, |v[4:5]|, s[94:95]
	s_mov_b32 s2, 0
	s_mov_b32 s3, 0x7ff00000
	;; [unrolled: 1-line block ×4, first 2 shown]
	v_cndmask_b32_e32 v27, v0, v43, vcc
	v_cndmask_b32_e32 v26, v4, v42, vcc
	v_mul_f64 v[44:45], v[38:39], v[26:27]
	v_mul_f64 v[20:21], v[8:9], v[26:27]
	;; [unrolled: 1-line block ×3, first 2 shown]
	v_fma_f64 v[56:57], v[38:39], v[26:27], -v[44:45]
	v_add_f64 v[58:59], v[20:21], v[56:57]
	v_add_f64 v[50:51], v[58:59], -v[20:21]
	v_add_f64 v[60:61], v[44:45], v[58:59]
	v_add_f64 v[56:57], v[56:57], -v[50:51]
	v_add_f64 v[50:51], v[58:59], -v[50:51]
	v_ldexp_f64 v[24:25], v[60:61], -2
	v_add_f64 v[50:51], v[20:21], -v[50:51]
	v_fract_f64_e32 v[34:35], v[24:25]
	v_cmp_neq_f64_e64 vcc, |v[24:25]|, s[2:3]
	v_add_f64 v[50:51], v[56:57], v[50:51]
	v_fma_f64 v[56:57], v[8:9], v[26:27], -v[20:21]
	v_add_f64 v[20:21], v[60:61], -v[44:45]
	v_add_f64 v[54:55], v[16:17], v[56:57]
	v_add_f64 v[44:45], v[58:59], -v[20:21]
	v_add_f64 v[2:3], v[54:55], v[50:51]
	v_add_f64 v[20:21], v[44:45], v[2:3]
	v_add_f64 v[58:59], v[2:3], -v[54:55]
	v_add_f64 v[44:45], v[20:21], -v[44:45]
	;; [unrolled: 1-line block ×5, first 2 shown]
	buffer_load_dword v59, off, s[96:99], 0 offset:152 ; 4-byte Folded Reload
	buffer_load_dword v60, off, s[96:99], 0 offset:156 ; 4-byte Folded Reload
	v_add_f64 v[2:3], v[54:55], -v[2:3]
	v_add_f64 v[2:3], v[50:51], v[2:3]
	v_add_f64 v[50:51], v[54:55], -v[16:17]
	v_add_f64 v[56:57], v[56:57], -v[50:51]
	;; [unrolled: 1-line block ×4, first 2 shown]
	v_fma_f64 v[16:17], v[36:37], v[26:27], -v[16:17]
	v_add_f64 v[50:51], v[56:57], v[50:51]
	buffer_load_dword v56, off, s[96:99], 0 offset:136 ; 4-byte Folded Reload
	buffer_load_dword v57, off, s[96:99], 0 offset:140 ; 4-byte Folded Reload
	v_add_f64 v[2:3], v[50:51], v[2:3]
	v_add_f64 v[2:3], v[16:17], v[2:3]
	;; [unrolled: 1-line block ×3, first 2 shown]
	v_ldexp_f64 v[2:3], v[34:35], 2
	v_cndmask_b32_e32 v3, 0, v3, vcc
	v_cndmask_b32_e32 v2, 0, v2, vcc
	v_add_f64 v[16:17], v[20:21], v[2:3]
	v_cmp_gt_f64_e32 vcc, 0, v[16:17]
	v_mov_b32_e32 v16, 0x40100000
	v_cndmask_b32_e32 v31, 0, v16, vcc
	v_add_f64 v[2:3], v[2:3], v[30:31]
	v_add_f64 v[16:17], v[20:21], v[2:3]
	v_cvt_i32_f64_e32 v24, v[16:17]
	v_cvt_f64_i32_e32 v[16:17], v24
	v_add_f64 v[2:3], v[2:3], -v[16:17]
	v_add_f64 v[16:17], v[20:21], v[2:3]
	v_add_f64 v[2:3], v[16:17], -v[2:3]
	v_cmp_le_f64_e32 vcc, 0.5, v[16:17]
	v_add_f64 v[2:3], v[20:21], -v[2:3]
	v_mov_b32_e32 v20, 0x3ff00000
	v_cndmask_b32_e32 v31, 0, v20, vcc
	v_add_f64 v[16:17], v[16:17], -v[30:31]
	v_addc_co_u32_e64 v48, s[2:3], 0, v24, vcc
	v_add_f64 v[2:3], v[26:27], v[2:3]
	v_add_f64 v[20:21], v[16:17], v[2:3]
	v_add_f64 v[16:17], v[20:21], -v[16:17]
	v_add_f64 v[2:3], v[2:3], -v[16:17]
	v_mul_f64 v[16:17], v[20:21], s[38:39]
	v_fma_f64 v[24:25], v[20:21], s[38:39], -v[16:17]
	v_fma_f64 v[20:21], v[20:21], s[44:45], v[24:25]
	v_fma_f64 v[2:3], v[2:3], s[38:39], v[20:21]
	v_add_f64 v[20:21], v[16:17], v[2:3]
	v_add_f64 v[16:17], v[20:21], -v[16:17]
	v_add_f64 v[26:27], v[2:3], -v[16:17]
	s_andn2_saveexec_b64 s[2:3], s[62:63]
	s_cbranch_execz .LBB0_110
	s_branch .LBB0_109
.LBB0_108:                              ;   in Loop: Header=BB0_90 Depth=2
	s_andn2_saveexec_b64 s[2:3], s[62:63]
	s_cbranch_execz .LBB0_110
.LBB0_109:                              ;   in Loop: Header=BB0_90 Depth=2
	v_mul_f64 v[20:21], |v[4:5]|, s[46:47]
	s_mov_b32 s42, s48
	v_rndne_f64_e32 v[24:25], v[20:21]
	v_fma_f64 v[20:21], v[24:25], s[40:41], |v[4:5]|
	v_mul_f64 v[26:27], v[24:25], s[48:49]
	v_cvt_i32_f64_e32 v48, v[24:25]
	s_waitcnt vmcnt(0)
	v_fma_f64 v[56:57], v[24:25], s[48:49], v[20:21]
	v_add_f64 v[34:35], v[20:21], v[26:27]
	v_add_f64 v[44:45], v[20:21], -v[34:35]
	v_add_f64 v[34:35], v[34:35], -v[56:57]
	v_add_f64 v[20:21], v[44:45], v[26:27]
	v_fma_f64 v[26:27], v[24:25], s[42:43], v[26:27]
	v_add_f64 v[20:21], v[34:35], v[20:21]
	v_add_f64 v[20:21], v[20:21], -v[26:27]
	v_fma_f64 v[26:27], v[24:25], s[50:51], v[20:21]
	v_add_f64 v[20:21], v[56:57], v[26:27]
	v_add_f64 v[34:35], v[20:21], -v[56:57]
	buffer_load_dword v56, off, s[96:99], 0 offset:136 ; 4-byte Folded Reload
	buffer_load_dword v57, off, s[96:99], 0 offset:140 ; 4-byte Folded Reload
	v_add_f64 v[26:27], v[26:27], -v[34:35]
.LBB0_110:                              ;   in Loop: Header=BB0_90 Depth=2
	s_or_b64 exec, exec, s[2:3]
                                        ; implicit-def: $vgpr58
                                        ; implicit-def: $vgpr24_vgpr25
                                        ; implicit-def: $vgpr34_vgpr35
	s_and_saveexec_b64 s[2:3], s[6:7]
	s_xor_b64 s[6:7], exec, s[2:3]
	s_cbranch_execz .LBB0_112
; %bb.111:                              ;   in Loop: Header=BB0_90 Depth=2
	v_cmp_ge_f64_e64 vcc, |v[4:5]|, s[94:95]
	s_mov_b32 s2, 0
	s_mov_b32 s3, 0x7ff00000
	s_mov_b32 s38, s40
	s_mov_b32 s45, s43
	v_cndmask_b32_e32 v3, v0, v43, vcc
	v_cndmask_b32_e32 v2, v4, v42, vcc
	v_mul_f64 v[34:35], v[38:39], v[2:3]
	v_mul_f64 v[16:17], v[8:9], v[2:3]
	v_mov_b32_e32 v0, 0x40100000
	v_fma_f64 v[42:43], v[38:39], v[2:3], -v[34:35]
	v_add_f64 v[44:45], v[16:17], v[42:43]
	v_add_f64 v[54:55], v[44:45], -v[16:17]
	v_add_f64 v[50:51], v[34:35], v[44:45]
	v_add_f64 v[42:43], v[42:43], -v[54:55]
	v_add_f64 v[54:55], v[44:45], -v[54:55]
	v_ldexp_f64 v[24:25], v[50:51], -2
	v_add_f64 v[54:55], v[16:17], -v[54:55]
	v_fma_f64 v[16:17], v[8:9], v[2:3], -v[16:17]
	v_add_f64 v[8:9], v[50:51], -v[34:35]
	v_fract_f64_e32 v[38:39], v[24:25]
	v_cmp_neq_f64_e64 vcc, |v[24:25]|, s[2:3]
	v_add_f64 v[42:43], v[42:43], v[54:55]
	v_mul_f64 v[54:55], v[36:37], v[2:3]
	v_add_f64 v[34:35], v[44:45], -v[8:9]
	s_waitcnt vmcnt(0)
	v_add_f64 v[56:57], v[54:55], v[16:17]
	v_fma_f64 v[2:3], v[36:37], v[2:3], -v[54:55]
	v_add_f64 v[58:59], v[56:57], v[42:43]
	v_add_f64 v[44:45], v[58:59], -v[56:57]
	v_add_f64 v[8:9], v[34:35], v[58:59]
	v_add_f64 v[42:43], v[42:43], -v[44:45]
	v_add_f64 v[44:45], v[58:59], -v[44:45]
	;; [unrolled: 1-line block ×5, first 2 shown]
	buffer_load_dword v59, off, s[96:99], 0 offset:152 ; 4-byte Folded Reload
	buffer_load_dword v60, off, s[96:99], 0 offset:156 ; 4-byte Folded Reload
	v_add_f64 v[42:43], v[42:43], v[44:45]
	v_add_f64 v[44:45], v[56:57], -v[54:55]
	v_add_f64 v[16:17], v[16:17], -v[44:45]
	;; [unrolled: 1-line block ×3, first 2 shown]
	buffer_load_dword v56, off, s[96:99], 0 offset:136 ; 4-byte Folded Reload
	buffer_load_dword v57, off, s[96:99], 0 offset:140 ; 4-byte Folded Reload
	v_add_f64 v[44:45], v[54:55], -v[44:45]
	v_add_f64 v[16:17], v[16:17], v[44:45]
	v_add_f64 v[16:17], v[16:17], v[42:43]
	;; [unrolled: 1-line block ×4, first 2 shown]
	v_ldexp_f64 v[2:3], v[38:39], 2
	v_cndmask_b32_e32 v3, 0, v3, vcc
	v_cndmask_b32_e32 v2, 0, v2, vcc
	v_add_f64 v[16:17], v[8:9], v[2:3]
	v_cmp_gt_f64_e32 vcc, 0, v[16:17]
	v_cndmask_b32_e32 v31, 0, v0, vcc
	v_add_f64 v[2:3], v[2:3], v[30:31]
	v_add_f64 v[16:17], v[8:9], v[2:3]
	v_cvt_i32_f64_e32 v0, v[16:17]
	v_cvt_f64_i32_e32 v[16:17], v0
	v_add_f64 v[2:3], v[2:3], -v[16:17]
	v_add_f64 v[16:17], v[8:9], v[2:3]
	v_add_f64 v[2:3], v[16:17], -v[2:3]
	v_cmp_le_f64_e32 vcc, 0.5, v[16:17]
	v_add_f64 v[2:3], v[8:9], -v[2:3]
	v_addc_co_u32_e64 v58, s[2:3], 0, v0, vcc
	v_mov_b32_e32 v0, 0x3ff00000
	v_cndmask_b32_e32 v31, 0, v0, vcc
	v_add_f64 v[8:9], v[16:17], -v[30:31]
	v_add_f64 v[2:3], v[34:35], v[2:3]
	v_add_f64 v[16:17], v[8:9], v[2:3]
	v_add_f64 v[8:9], v[16:17], -v[8:9]
	v_add_f64 v[2:3], v[2:3], -v[8:9]
	v_mul_f64 v[8:9], v[16:17], s[38:39]
	v_fma_f64 v[24:25], v[16:17], s[38:39], -v[8:9]
	v_fma_f64 v[16:17], v[16:17], s[44:45], v[24:25]
	v_fma_f64 v[2:3], v[2:3], s[38:39], v[16:17]
	v_add_f64 v[24:25], v[8:9], v[2:3]
	v_add_f64 v[8:9], v[24:25], -v[8:9]
	v_add_f64 v[34:35], v[2:3], -v[8:9]
	s_andn2_saveexec_b64 s[2:3], s[6:7]
	s_cbranch_execnz .LBB0_113
	s_branch .LBB0_114
.LBB0_112:                              ;   in Loop: Header=BB0_90 Depth=2
	s_andn2_saveexec_b64 s[2:3], s[6:7]
	s_cbranch_execz .LBB0_114
.LBB0_113:                              ;   in Loop: Header=BB0_90 Depth=2
	v_mul_f64 v[2:3], |v[4:5]|, s[46:47]
	s_mov_b32 s42, s48
	v_rndne_f64_e32 v[2:3], v[2:3]
	v_fma_f64 v[8:9], v[2:3], s[40:41], |v[4:5]|
	v_mul_f64 v[16:17], v[2:3], s[48:49]
	v_cvt_i32_f64_e32 v58, v[2:3]
	v_add_f64 v[24:25], v[8:9], v[16:17]
	v_add_f64 v[34:35], v[8:9], -v[24:25]
	v_fma_f64 v[8:9], v[2:3], s[48:49], v[8:9]
	v_add_f64 v[34:35], v[34:35], v[16:17]
	v_add_f64 v[24:25], v[24:25], -v[8:9]
	v_fma_f64 v[16:17], v[2:3], s[42:43], v[16:17]
	;; [unrolled: 3-line block ×3, first 2 shown]
	v_add_f64 v[24:25], v[8:9], v[16:17]
	v_add_f64 v[8:9], v[24:25], -v[8:9]
	v_add_f64 v[34:35], v[16:17], -v[8:9]
.LBB0_114:                              ;   in Loop: Header=BB0_90 Depth=2
	s_or_b64 exec, exec, s[2:3]
	buffer_load_dword v8, off, s[96:99], 0 offset:32 ; 4-byte Folded Reload
	buffer_load_dword v9, off, s[96:99], 0 offset:36 ; 4-byte Folded Reload
	;; [unrolled: 1-line block ×4, first 2 shown]
	s_mov_b32 s70, s78
	v_mul_f64 v[18:19], v[32:33], v[18:19]
	v_add_f64 v[2:3], v[10:11], v[10:11]
	s_mov_b32 s72, s76
	s_mov_b32 s30, s18
	v_and_b32_e32 v0, 1, v49
	s_mov_b32 s74, s78
	s_mov_b32 s88, s90
	v_div_scale_f64 v[31:32], s[2:3], v[18:19], v[18:19], 1.0
	s_mov_b32 s2, 0xb42fdfa7
	s_mov_b32 s3, 0xbe5ae600
	s_waitcnt vmcnt(0)
	v_fma_f64 v[16:17], v[16:17], s[70:71], v[8:9]
	buffer_load_dword v8, off, s[96:99], 0 offset:24 ; 4-byte Folded Reload
	buffer_load_dword v9, off, s[96:99], 0 offset:28 ; 4-byte Folded Reload
	s_waitcnt vmcnt(0)
	v_fma_f64 v[38:39], v[59:60], s[86:87], v[8:9]
	buffer_load_dword v8, off, s[96:99], 0 offset:40 ; 4-byte Folded Reload
	buffer_load_dword v9, off, s[96:99], 0 offset:44 ; 4-byte Folded Reload
	;; [unrolled: 1-line block ×4, first 2 shown]
	s_waitcnt vmcnt(0)
	v_fma_f64 v[8:9], v[36:37], s[78:79], v[8:9]
	buffer_load_dword v36, off, s[96:99], 0 offset:48 ; 4-byte Folded Reload
	buffer_load_dword v37, off, s[96:99], 0 offset:52 ; 4-byte Folded Reload
	;; [unrolled: 1-line block ×4, first 2 shown]
	s_waitcnt vmcnt(0)
	v_fma_f64 v[36:37], v[42:43], s[70:71], v[36:37]
	v_rcp_f64_e32 v[42:43], v[31:32]
	v_fma_f64 v[44:45], -v[31:32], v[42:43], 1.0
	v_fma_f64 v[42:43], v[42:43], v[44:45], v[42:43]
	v_fma_f64 v[44:45], -v[31:32], v[42:43], 1.0
	v_fma_f64 v[42:43], v[42:43], v[44:45], v[42:43]
	v_div_scale_f64 v[44:45], vcc, 1.0, v[18:19], 1.0
	v_mul_f64 v[50:51], v[44:45], v[42:43]
	v_fma_f64 v[31:32], -v[31:32], v[50:51], v[44:45]
	s_nop 1
	v_div_fmas_f64 v[31:32], v[31:32], v[42:43], v[50:51]
	buffer_load_dword v50, off, s[96:99], 0 offset:56 ; 4-byte Folded Reload
	buffer_load_dword v51, off, s[96:99], 0 offset:60 ; 4-byte Folded Reload
	;; [unrolled: 1-line block ×4, first 2 shown]
	v_cmp_eq_u32_e32 vcc, 0, v0
	v_div_fixup_f64 v[18:19], v[31:32], v[18:19], 1.0
	v_mul_f64 v[31:32], v[10:11], v[10:11]
	v_add_f64 v[10:11], v[10:11], -1.0
	s_waitcnt vmcnt(2)
	v_add_f64 v[31:32], v[50:51], v[31:32]
	s_waitcnt vmcnt(0)
	v_mul_f64 v[42:43], v[42:43], v[10:11]
	v_fma_f64 v[2:3], v[2:3], v[31:32], -v[42:43]
	buffer_load_dword v31, off, s[96:99], 0 offset:144 ; 4-byte Folded Reload
	buffer_load_dword v32, off, s[96:99], 0 offset:148 ; 4-byte Folded Reload
	s_waitcnt vmcnt(0)
	v_add_f64 v[2:3], v[2:3], -v[31:32]
	v_add_f64 v[31:32], v[28:29], v[28:29]
	v_mul_f64 v[28:29], v[28:29], v[31:32]
	v_mul_f64 v[31:32], v[22:23], 0.5
	v_mul_f64 v[10:11], v[10:11], v[28:29]
	v_mul_f64 v[10:11], v[10:11], v[12:13]
	v_fma_f64 v[2:3], v[2:3], v[18:19], -v[10:11]
	buffer_load_dword v10, off, s[96:99], 0 offset:104 ; 4-byte Folded Reload
	buffer_load_dword v11, off, s[96:99], 0 offset:108 ; 4-byte Folded Reload
	;; [unrolled: 1-line block ×4, first 2 shown]
	buffer_load_dword v46, off, s[96:99], 0 ; 4-byte Folded Reload
	buffer_load_dword v47, off, s[96:99], 0 offset:4 ; 4-byte Folded Reload
	s_waitcnt vmcnt(4)
	v_fma_f64 v[10:11], v[10:11], s[72:73], v[16:17]
	s_waitcnt vmcnt(2)
	v_fma_f64 v[16:17], v[12:13], s[56:57], v[38:39]
	s_waitcnt vmcnt(0)
	v_mul_f64 v[2:3], v[46:47], -v[2:3]
	buffer_store_dword v2, off, s[96:99], 0 offset:120 ; 4-byte Folded Spill
	s_nop 0
	buffer_store_dword v3, off, s[96:99], 0 offset:124 ; 4-byte Folded Spill
	v_fma_f64 v[44:45], v[2:3], s[76:77], v[8:9]
	buffer_load_dword v2, off, s[96:99], 0 offset:112 ; 4-byte Folded Reload
	buffer_load_dword v3, off, s[96:99], 0 offset:116 ; 4-byte Folded Reload
	v_mov_b32_e32 v9, s3
	v_mov_b32_e32 v8, s2
	s_mov_b32 s2, 0x9037ab78
	s_mov_b32 s3, 0x3e21eeb6
	s_waitcnt vmcnt(0)
	v_fma_f64 v[28:29], v[2:3], s[72:73], v[36:37]
	v_mul_f64 v[2:3], v[6:7], v[6:7]
	v_fma_f64 v[18:19], v[2:3], s[22:23], v[8:9]
	v_mul_f64 v[12:13], v[6:7], -v[2:3]
	v_mul_f64 v[38:39], v[2:3], v[2:3]
	v_fma_f64 v[18:19], v[2:3], v[18:19], s[24:25]
	v_fma_f64 v[18:19], v[2:3], v[18:19], s[26:27]
	;; [unrolled: 1-line block ×4, first 2 shown]
	v_fma_f64 v[18:19], v[2:3], v[18:19], -v[22:23]
	v_fma_f64 v[12:13], v[12:13], s[30:31], v[18:19]
	v_mul_f64 v[18:19], v[2:3], 0.5
	v_add_f64 v[31:32], v[6:7], -v[12:13]
	v_mov_b32_e32 v13, s3
	v_mov_b32_e32 v12, s2
	v_fma_f64 v[42:43], v[2:3], s[10:11], v[12:13]
	v_add_f64 v[36:37], -v[18:19], 1.0
	v_fma_f64 v[42:43], v[2:3], v[42:43], s[12:13]
	v_fma_f64 v[42:43], v[2:3], v[42:43], s[14:15]
	;; [unrolled: 1-line block ×4, first 2 shown]
	v_add_f64 v[42:43], -v[36:37], 1.0
	v_add_f64 v[18:19], v[42:43], -v[18:19]
	v_fma_f64 v[6:7], v[6:7], -v[22:23], v[18:19]
	v_mov_b32_e32 v18, 0x3e45798e
	v_fma_f64 v[2:3], v[38:39], v[2:3], v[6:7]
	v_mov_b32_e32 v6, 0x3c9cd2b2
	v_add_f64 v[2:3], v[36:37], v[2:3]
	v_cndmask_b32_e32 v0, v2, v31, vcc
	v_cndmask_b32_e32 v2, v3, v32, vcc
	v_lshlrev_b32_e32 v3, 30, v49
	v_xor_b32_e32 v1, v3, v1
	v_and_b32_e32 v1, 0x80000000, v1
	v_xor_b32_e32 v1, v2, v1
	v_cndmask_b32_e64 v0, 0, v0, s[0:1]
	v_cndmask_b32_e64 v1, v62, v1, s[0:1]
	v_mul_f64 v[2:3], v[0:1], v[0:1]
	v_cmp_gt_f64_e32 vcc, s[52:53], v[0:1]
	v_cndmask_b32_e32 v23, v3, v6, vcc
	v_mov_b32_e32 v3, 0x97d889bc
	v_cndmask_b32_e32 v22, v2, v3, vcc
	buffer_store_dword v22, off, s[96:99], 0 offset:216 ; 4-byte Folded Spill
	s_nop 0
	buffer_store_dword v23, off, s[96:99], 0 offset:220 ; 4-byte Folded Spill
	v_cndmask_b32_e32 v1, v1, v18, vcc
	v_mov_b32_e32 v18, 0xe2308c3a
	v_cndmask_b32_e32 v0, v0, v18, vcc
	v_mul_f64 v[0:1], -v[0:1], v[14:15]
	v_mul_f64 v[2:3], v[40:41], v[40:41]
	v_fma_f64 v[2:3], v[40:41], -2.0, v[2:3]
	v_add_f64 v[6:7], v[50:51], v[2:3]
	v_mul_f64 v[2:3], v[6:7], -v[44:45]
	v_mul_f64 v[2:3], v[2:3], v[52:53]
	v_mul_f64 v[14:15], v[22:23], v[22:23]
	v_div_scale_f64 v[18:19], s[0:1], v[14:15], v[14:15], v[56:57]
	v_cmp_class_f64_e64 s[0:1], v[4:5], s60
	v_rcp_f64_e32 v[22:23], v[18:19]
	v_fma_f64 v[31:32], -v[18:19], v[22:23], 1.0
	v_fma_f64 v[22:23], v[22:23], v[31:32], v[22:23]
	v_fma_f64 v[31:32], -v[18:19], v[22:23], 1.0
	v_fma_f64 v[22:23], v[22:23], v[31:32], v[22:23]
	v_div_scale_f64 v[31:32], vcc, v[56:57], v[14:15], v[56:57]
	v_mul_f64 v[36:37], v[31:32], v[22:23]
	v_fma_f64 v[18:19], -v[18:19], v[36:37], v[31:32]
	s_nop 1
	v_div_fmas_f64 v[18:19], v[18:19], v[22:23], v[36:37]
	v_div_fixup_f64 v[14:15], v[18:19], v[14:15], v[56:57]
	v_add_f64 v[14:15], v[14:15], -v[50:51]
	v_mul_f64 v[0:1], v[14:15], v[0:1]
	v_mul_f64 v[14:15], v[0:1], v[52:53]
	;; [unrolled: 1-line block ×3, first 2 shown]
	buffer_store_dword v0, off, s[96:99], 0 offset:96 ; 4-byte Folded Spill
	s_nop 0
	buffer_store_dword v1, off, s[96:99], 0 offset:100 ; 4-byte Folded Spill
	v_mul_f64 v[2:3], v[24:25], v[24:25]
	v_fma_f64 v[12:13], v[2:3], s[10:11], v[12:13]
	v_fma_f64 v[8:9], v[2:3], s[22:23], v[8:9]
	;; [unrolled: 1-line block ×9, first 2 shown]
	buffer_load_dword v0, off, s[96:99], 0 offset:80 ; 4-byte Folded Reload
	buffer_load_dword v1, off, s[96:99], 0 offset:84 ; 4-byte Folded Reload
	s_waitcnt vmcnt(0)
	v_fma_f64 v[10:11], v[0:1], s[90:91], v[16:17]
	v_mul_f64 v[0:1], v[46:47], v[14:15]
	v_mul_f64 v[16:17], v[2:3], 0.5
	buffer_store_dword v0, off, s[96:99], 0 offset:88 ; 4-byte Folded Spill
	s_nop 0
	buffer_store_dword v1, off, s[96:99], 0 offset:92 ; 4-byte Folded Spill
	v_add_f64 v[18:19], -v[16:17], 1.0
	buffer_store_dword v31, off, s[96:99], 0 offset:176 ; 4-byte Folded Spill
	s_nop 0
	buffer_store_dword v32, off, s[96:99], 0 offset:180 ; 4-byte Folded Spill
	v_add_f64 v[22:23], -v[18:19], 1.0
	v_add_f64 v[16:17], v[22:23], -v[16:17]
	v_mul_f64 v[22:23], v[2:3], v[2:3]
	v_fma_f64 v[16:17], v[24:25], -v[34:35], v[16:17]
	v_fma_f64 v[12:13], v[22:23], v[12:13], v[16:17]
	v_fma_f64 v[16:17], v[2:3], v[8:9], s[28:29]
	v_mul_f64 v[8:9], v[24:25], -v[2:3]
	v_add_f64 v[12:13], v[18:19], v[12:13]
	v_mul_f64 v[18:19], v[34:35], 0.5
	v_fma_f64 v[16:17], v[8:9], v[16:17], v[18:19]
	v_fma_f64 v[16:17], v[2:3], v[16:17], -v[34:35]
	v_fma_f64 v[2:3], v[8:9], s[30:31], v[16:17]
	v_add_f64 v[2:3], v[24:25], -v[2:3]
	v_fma_f64 v[14:15], v[0:1], s[74:75], v[28:29]
	v_and_b32_e32 v1, 1, v58
	v_cmp_eq_u32_e32 vcc, 0, v1
	v_xor_b32_e32 v0, 0x80000000, v3
	v_cndmask_b32_e32 v1, v2, v12, vcc
	v_lshlrev_b32_e32 v2, 30, v58
	v_cndmask_b32_e32 v0, v0, v13, vcc
	v_and_b32_e32 v2, 0x80000000, v2
	v_xor_b32_e32 v0, v0, v2
	v_cndmask_b32_e64 v12, 0, v1, s[0:1]
	v_cndmask_b32_e64 v13, v62, v0, s[0:1]
	v_mul_f64 v[0:1], v[31:32], v[31:32]
	buffer_store_dword v0, off, s[96:99], 0 offset:184 ; 4-byte Folded Spill
	s_nop 0
	buffer_store_dword v1, off, s[96:99], 0 offset:188 ; 4-byte Folded Spill
	v_mul_f64 v[2:3], v[12:13], v[12:13]
	v_fma_f64 v[28:29], v[50:51], v[2:3], v[0:1]
	v_div_scale_f64 v[2:3], s[2:3], v[28:29], v[28:29], 1.0
	v_rcp_f64_e32 v[8:9], v[2:3]
	v_fma_f64 v[16:17], -v[2:3], v[8:9], 1.0
	v_fma_f64 v[8:9], v[8:9], v[16:17], v[8:9]
	v_fma_f64 v[16:17], -v[2:3], v[8:9], 1.0
	v_fma_f64 v[8:9], v[8:9], v[16:17], v[8:9]
	v_div_scale_f64 v[16:17], vcc, 1.0, v[28:29], 1.0
	v_mul_f64 v[18:19], v[16:17], v[8:9]
	v_fma_f64 v[2:3], -v[2:3], v[18:19], v[16:17]
	s_nop 1
	v_div_fmas_f64 v[2:3], v[2:3], v[8:9], v[18:19]
	v_div_fixup_f64 v[0:1], v[2:3], v[28:29], 1.0
	buffer_store_dword v0, off, s[96:99], 0 offset:192 ; 4-byte Folded Spill
	s_nop 0
	buffer_store_dword v1, off, s[96:99], 0 offset:196 ; 4-byte Folded Spill
	v_mul_f64 v[2:3], v[0:1], -v[14:15]
	v_mul_f64 v[0:1], v[46:47], v[2:3]
	buffer_store_dword v0, off, s[96:99], 0 offset:160 ; 4-byte Folded Spill
	s_nop 0
	buffer_store_dword v1, off, s[96:99], 0 offset:164 ; 4-byte Folded Spill
	v_fma_f64 v[61:62], v[0:1], s[88:89], v[10:11]
                                        ; implicit-def: $vgpr0
                                        ; kill: killed $vgpr0
                                        ; implicit-def: $vgpr0_vgpr1
                                        ; kill: killed $vgpr0_vgpr1
                                        ; implicit-def: $vgpr0_vgpr1
                                        ; kill: killed $vgpr0_vgpr1
	v_trig_preop_f64 v[33:34], |v[61:62]|, 0
	v_trig_preop_f64 v[24:25], |v[61:62]|, 1
	;; [unrolled: 1-line block ×3, first 2 shown]
	v_cmp_nlt_f64_e64 s[6:7], |v[61:62]|, s[92:93]
	v_ldexp_f64 v[8:9], |v[61:62]|, s33
	v_and_b32_e32 v4, 0x7fffffff, v62
	s_and_saveexec_b64 s[2:3], s[6:7]
	s_xor_b64 s[62:63], exec, s[2:3]
	s_cbranch_execz .LBB0_116
; %bb.115:                              ;   in Loop: Header=BB0_90 Depth=2
	v_cmp_ge_f64_e64 vcc, |v[61:62]|, s[94:95]
	s_mov_b32 s2, 0
	s_mov_b32 s3, 0x7ff00000
	;; [unrolled: 1-line block ×4, first 2 shown]
	v_cndmask_b32_e32 v3, v4, v9, vcc
	v_cndmask_b32_e32 v2, v61, v8, vcc
	v_mul_f64 v[18:19], v[33:34], v[2:3]
	v_mul_f64 v[10:11], v[24:25], v[2:3]
	;; [unrolled: 1-line block ×3, first 2 shown]
	v_fma_f64 v[35:36], v[33:34], v[2:3], -v[18:19]
	v_add_f64 v[37:38], v[10:11], v[35:36]
	v_add_f64 v[49:50], v[37:38], -v[10:11]
	v_add_f64 v[42:43], v[18:19], v[37:38]
	v_add_f64 v[35:36], v[35:36], -v[49:50]
	v_add_f64 v[49:50], v[37:38], -v[49:50]
	v_ldexp_f64 v[16:17], v[42:43], -2
	v_add_f64 v[49:50], v[10:11], -v[49:50]
	v_fract_f64_e32 v[31:32], v[16:17]
	v_cmp_neq_f64_e64 vcc, |v[16:17]|, s[2:3]
	v_add_f64 v[35:36], v[35:36], v[49:50]
	v_fma_f64 v[49:50], v[24:25], v[2:3], -v[10:11]
	v_add_f64 v[10:11], v[42:43], -v[18:19]
	v_fma_f64 v[2:3], v[14:15], v[2:3], -v[54:55]
	v_add_f64 v[58:59], v[54:55], v[49:50]
	v_add_f64 v[18:19], v[37:38], -v[10:11]
	v_add_f64 v[0:1], v[58:59], v[35:36]
	v_add_f64 v[10:11], v[18:19], v[0:1]
	v_add_f64 v[37:38], v[0:1], -v[58:59]
	v_add_f64 v[18:19], v[10:11], -v[18:19]
	;; [unrolled: 1-line block ×6, first 2 shown]
	v_add_f64 v[0:1], v[35:36], v[0:1]
	v_add_f64 v[35:36], v[58:59], -v[54:55]
	v_add_f64 v[37:38], v[49:50], -v[35:36]
	;; [unrolled: 1-line block ×3, first 2 shown]
	buffer_load_dword v59, off, s[96:99], 0 offset:152 ; 4-byte Folded Reload
	buffer_load_dword v60, off, s[96:99], 0 offset:156 ; 4-byte Folded Reload
	v_add_f64 v[35:36], v[54:55], -v[35:36]
	v_add_f64 v[35:36], v[37:38], v[35:36]
	v_add_f64 v[0:1], v[35:36], v[0:1]
	;; [unrolled: 1-line block ×4, first 2 shown]
	v_ldexp_f64 v[0:1], v[31:32], 2
	v_cndmask_b32_e32 v1, 0, v1, vcc
	v_cndmask_b32_e32 v0, 0, v0, vcc
	v_add_f64 v[2:3], v[10:11], v[0:1]
	v_cmp_gt_f64_e32 vcc, 0, v[2:3]
	v_mov_b32_e32 v2, 0x40100000
	v_cndmask_b32_e32 v31, 0, v2, vcc
	v_add_f64 v[0:1], v[0:1], v[30:31]
	v_add_f64 v[2:3], v[10:11], v[0:1]
	v_cvt_i32_f64_e32 v16, v[2:3]
	v_cvt_f64_i32_e32 v[2:3], v16
	v_add_f64 v[0:1], v[0:1], -v[2:3]
	v_add_f64 v[2:3], v[10:11], v[0:1]
	v_add_f64 v[0:1], v[2:3], -v[0:1]
	v_cmp_le_f64_e32 vcc, 0.5, v[2:3]
	v_add_f64 v[0:1], v[10:11], -v[0:1]
	v_addc_co_u32_e64 v10, s[2:3], 0, v16, vcc
	buffer_store_dword v10, off, s[96:99], 0 offset:308 ; 4-byte Folded Spill
	v_mov_b32_e32 v10, 0x3ff00000
	v_cndmask_b32_e32 v31, 0, v10, vcc
	v_add_f64 v[2:3], v[2:3], -v[30:31]
	v_add_f64 v[0:1], v[35:36], v[0:1]
	v_add_f64 v[10:11], v[2:3], v[0:1]
	v_add_f64 v[2:3], v[10:11], -v[2:3]
	v_add_f64 v[0:1], v[0:1], -v[2:3]
	v_mul_f64 v[2:3], v[10:11], s[38:39]
	v_fma_f64 v[16:17], v[10:11], s[38:39], -v[2:3]
	v_fma_f64 v[10:11], v[10:11], s[44:45], v[16:17]
	v_fma_f64 v[0:1], v[0:1], s[38:39], v[10:11]
	v_add_f64 v[10:11], v[2:3], v[0:1]
	buffer_store_dword v10, off, s[96:99], 0 offset:224 ; 4-byte Folded Spill
	s_nop 0
	buffer_store_dword v11, off, s[96:99], 0 offset:228 ; 4-byte Folded Spill
	v_add_f64 v[2:3], v[10:11], -v[2:3]
	v_add_f64 v[0:1], v[0:1], -v[2:3]
	buffer_store_dword v0, off, s[96:99], 0 offset:232 ; 4-byte Folded Spill
	s_nop 0
	buffer_store_dword v1, off, s[96:99], 0 offset:236 ; 4-byte Folded Spill
	s_andn2_saveexec_b64 s[2:3], s[62:63]
	s_cbranch_execz .LBB0_118
	s_branch .LBB0_117
.LBB0_116:                              ;   in Loop: Header=BB0_90 Depth=2
	s_andn2_saveexec_b64 s[2:3], s[62:63]
	s_cbranch_execz .LBB0_118
.LBB0_117:                              ;   in Loop: Header=BB0_90 Depth=2
	v_mul_f64 v[2:3], |v[61:62]|, s[46:47]
	s_mov_b32 s42, s48
	v_rndne_f64_e32 v[2:3], v[2:3]
	v_fma_f64 v[10:11], v[2:3], s[40:41], |v[61:62]|
	v_mul_f64 v[16:17], v[2:3], s[48:49]
	v_add_f64 v[18:19], v[10:11], v[16:17]
	v_add_f64 v[31:32], v[10:11], -v[18:19]
	v_fma_f64 v[10:11], v[2:3], s[48:49], v[10:11]
	v_add_f64 v[31:32], v[31:32], v[16:17]
	v_add_f64 v[18:19], v[18:19], -v[10:11]
	v_fma_f64 v[16:17], v[2:3], s[42:43], v[16:17]
	;; [unrolled: 3-line block ×3, first 2 shown]
	v_add_f64 v[0:1], v[10:11], v[18:19]
	buffer_store_dword v0, off, s[96:99], 0 offset:224 ; 4-byte Folded Spill
	s_nop 0
	buffer_store_dword v1, off, s[96:99], 0 offset:228 ; 4-byte Folded Spill
	v_add_f64 v[10:11], v[0:1], -v[10:11]
	v_add_f64 v[0:1], v[18:19], -v[10:11]
	buffer_store_dword v0, off, s[96:99], 0 offset:232 ; 4-byte Folded Spill
	s_nop 0
	buffer_store_dword v1, off, s[96:99], 0 offset:236 ; 4-byte Folded Spill
	v_cvt_i32_f64_e32 v0, v[2:3]
	buffer_store_dword v0, off, s[96:99], 0 offset:308 ; 4-byte Folded Spill
.LBB0_118:                              ;   in Loop: Header=BB0_90 Depth=2
	s_or_b64 exec, exec, s[2:3]
                                        ; implicit-def: $vgpr10
                                        ; implicit-def: $vgpr31_vgpr32
                                        ; implicit-def: $vgpr36_vgpr37
	s_and_saveexec_b64 s[2:3], s[6:7]
	s_xor_b64 s[6:7], exec, s[2:3]
	s_cbranch_execz .LBB0_120
; %bb.119:                              ;   in Loop: Header=BB0_90 Depth=2
	v_cmp_ge_f64_e64 vcc, |v[61:62]|, s[94:95]
	s_mov_b32 s2, 0
	s_mov_b32 s3, 0x7ff00000
	;; [unrolled: 1-line block ×4, first 2 shown]
	v_cndmask_b32_e32 v1, v4, v9, vcc
	v_cndmask_b32_e32 v0, v61, v8, vcc
	v_mul_f64 v[8:9], v[33:34], v[0:1]
	v_mul_f64 v[2:3], v[24:25], v[0:1]
	v_fma_f64 v[10:11], v[33:34], v[0:1], -v[8:9]
	v_add_f64 v[35:36], v[2:3], v[10:11]
	v_add_f64 v[42:43], v[35:36], -v[2:3]
	v_add_f64 v[37:38], v[8:9], v[35:36]
	v_add_f64 v[10:11], v[10:11], -v[42:43]
	v_add_f64 v[42:43], v[35:36], -v[42:43]
	v_ldexp_f64 v[31:32], v[37:38], -2
	v_add_f64 v[8:9], v[37:38], -v[8:9]
	v_add_f64 v[42:43], v[2:3], -v[42:43]
	v_fma_f64 v[2:3], v[24:25], v[0:1], -v[2:3]
	v_mul_f64 v[24:25], v[14:15], v[0:1]
	v_add_f64 v[35:36], v[35:36], -v[8:9]
	v_fract_f64_e32 v[33:34], v[31:32]
	v_cmp_neq_f64_e64 vcc, |v[31:32]|, s[2:3]
	v_add_f64 v[10:11], v[10:11], v[42:43]
	v_add_f64 v[42:43], v[24:25], v[2:3]
	v_fma_f64 v[0:1], v[14:15], v[0:1], -v[24:25]
	v_add_f64 v[49:50], v[42:43], v[10:11]
	v_add_f64 v[37:38], v[49:50], -v[42:43]
	v_add_f64 v[8:9], v[35:36], v[49:50]
	v_add_f64 v[10:11], v[10:11], -v[37:38]
	v_add_f64 v[37:38], v[49:50], -v[37:38]
	;; [unrolled: 1-line block ×5, first 2 shown]
	v_add_f64 v[10:11], v[10:11], v[37:38]
	v_add_f64 v[37:38], v[42:43], -v[24:25]
	v_add_f64 v[2:3], v[2:3], -v[37:38]
	;; [unrolled: 1-line block ×4, first 2 shown]
	v_add_f64 v[2:3], v[2:3], v[37:38]
	v_add_f64 v[2:3], v[2:3], v[10:11]
	;; [unrolled: 1-line block ×4, first 2 shown]
	v_ldexp_f64 v[0:1], v[33:34], 2
	v_cndmask_b32_e32 v1, 0, v1, vcc
	v_cndmask_b32_e32 v0, 0, v0, vcc
	v_add_f64 v[2:3], v[8:9], v[0:1]
	v_cmp_gt_f64_e32 vcc, 0, v[2:3]
	v_mov_b32_e32 v2, 0x40100000
	v_cndmask_b32_e32 v31, 0, v2, vcc
	v_add_f64 v[0:1], v[0:1], v[30:31]
	v_add_f64 v[2:3], v[8:9], v[0:1]
	v_cvt_i32_f64_e32 v4, v[2:3]
	v_cvt_f64_i32_e32 v[2:3], v4
	v_add_f64 v[0:1], v[0:1], -v[2:3]
	v_add_f64 v[2:3], v[8:9], v[0:1]
	v_add_f64 v[0:1], v[2:3], -v[0:1]
	v_cmp_le_f64_e32 vcc, 0.5, v[2:3]
	v_add_f64 v[0:1], v[8:9], -v[0:1]
	v_addc_co_u32_e64 v10, s[2:3], 0, v4, vcc
	v_mov_b32_e32 v4, 0x3ff00000
	v_cndmask_b32_e32 v31, 0, v4, vcc
	v_add_f64 v[2:3], v[2:3], -v[30:31]
	v_add_f64 v[0:1], v[14:15], v[0:1]
	v_add_f64 v[8:9], v[2:3], v[0:1]
	v_add_f64 v[2:3], v[8:9], -v[2:3]
	v_add_f64 v[0:1], v[0:1], -v[2:3]
	v_mul_f64 v[2:3], v[8:9], s[38:39]
	v_fma_f64 v[14:15], v[8:9], s[38:39], -v[2:3]
	v_fma_f64 v[8:9], v[8:9], s[44:45], v[14:15]
	v_fma_f64 v[0:1], v[0:1], s[38:39], v[8:9]
	v_add_f64 v[31:32], v[2:3], v[0:1]
	v_add_f64 v[2:3], v[31:32], -v[2:3]
	v_add_f64 v[36:37], v[0:1], -v[2:3]
	s_andn2_saveexec_b64 s[2:3], s[6:7]
	s_cbranch_execnz .LBB0_121
	s_branch .LBB0_122
.LBB0_120:                              ;   in Loop: Header=BB0_90 Depth=2
	s_andn2_saveexec_b64 s[2:3], s[6:7]
	s_cbranch_execz .LBB0_122
.LBB0_121:                              ;   in Loop: Header=BB0_90 Depth=2
	v_mul_f64 v[0:1], |v[61:62]|, s[46:47]
	s_mov_b32 s42, s48
	v_rndne_f64_e32 v[0:1], v[0:1]
	v_fma_f64 v[2:3], v[0:1], s[40:41], |v[61:62]|
	v_mul_f64 v[8:9], v[0:1], s[48:49]
	v_add_f64 v[10:11], v[2:3], v[8:9]
	v_add_f64 v[14:15], v[2:3], -v[10:11]
	v_fma_f64 v[2:3], v[0:1], s[48:49], v[2:3]
	v_add_f64 v[14:15], v[14:15], v[8:9]
	v_add_f64 v[10:11], v[10:11], -v[2:3]
	v_fma_f64 v[8:9], v[0:1], s[42:43], v[8:9]
	v_add_f64 v[10:11], v[10:11], v[14:15]
	v_add_f64 v[8:9], v[10:11], -v[8:9]
	v_cvt_i32_f64_e32 v10, v[0:1]
	v_fma_f64 v[8:9], v[0:1], s[50:51], v[8:9]
	v_add_f64 v[31:32], v[2:3], v[8:9]
	v_add_f64 v[2:3], v[31:32], -v[2:3]
	v_add_f64 v[36:37], v[8:9], -v[2:3]
.LBB0_122:                              ;   in Loop: Header=BB0_90 Depth=2
	s_or_b64 exec, exec, s[2:3]
	buffer_load_dword v0, off, s[96:99], 0 offset:32 ; 4-byte Folded Reload
	buffer_load_dword v1, off, s[96:99], 0 offset:36 ; 4-byte Folded Reload
	;; [unrolled: 1-line block ×4, first 2 shown]
	s_mov_b32 s2, 0x84bda12f
	s_mov_b32 s3, 0xbfca12f6
	s_mov_b32 s70, s78
	s_mov_b32 s72, s76
	v_add_f64 v[24:25], v[40:41], v[40:41]
	s_mov_b32 s74, s78
	s_mov_b32 s30, s18
	v_lshlrev_b32_e32 v4, 30, v48
	v_xor_b32_e32 v4, v4, v5
	v_and_b32_e32 v4, 0x80000000, v4
	v_mov_b32_e32 v11, 0x3c9cd2b2
	s_mov_b32 s88, s90
	s_waitcnt vmcnt(9)
	v_mov_b32_e32 v46, v59
	v_mov_b32_e32 v47, v60
	s_mov_b32 s86, 0x84bda12f
	s_mov_b32 s56, 0
	;; [unrolled: 1-line block ×4, first 2 shown]
	s_waitcnt vmcnt(0)
	v_fma_f64 v[0:1], v[2:3], s[2:3], v[0:1]
	buffer_load_dword v2, off, s[96:99], 0 offset:24 ; 4-byte Folded Reload
	buffer_load_dword v3, off, s[96:99], 0 offset:28 ; 4-byte Folded Reload
	;; [unrolled: 1-line block ×6, first 2 shown]
	s_waitcnt vmcnt(4)
	v_fma_f64 v[2:3], v[59:60], s[54:55], v[2:3]
	s_waitcnt vmcnt(0)
	v_fma_f64 v[8:9], v[14:15], s[70:71], v[8:9]
	buffer_load_dword v14, off, s[96:99], 0 offset:48 ; 4-byte Folded Reload
	buffer_load_dword v15, off, s[96:99], 0 offset:52 ; 4-byte Folded Reload
	;; [unrolled: 1-line block ×4, first 2 shown]
	s_waitcnt vmcnt(0)
	v_fma_f64 v[14:15], v[16:17], s[2:3], v[14:15]
	buffer_load_dword v16, off, s[96:99], 0 offset:104 ; 4-byte Folded Reload
	buffer_load_dword v17, off, s[96:99], 0 offset:108 ; 4-byte Folded Reload
	s_mov_b32 s2, 0
	s_mov_b32 s3, 0x40040000
	s_waitcnt vmcnt(0)
	v_fma_f64 v[0:1], v[16:17], s[2:3], v[0:1]
	buffer_load_dword v16, off, s[96:99], 0 offset:128 ; 4-byte Folded Reload
	buffer_load_dword v17, off, s[96:99], 0 offset:132 ; 4-byte Folded Reload
	s_waitcnt vmcnt(0)
	v_fma_f64 v[38:39], v[16:17], s[58:59], v[2:3]
	buffer_load_dword v2, off, s[96:99], 0 offset:120 ; 4-byte Folded Reload
	buffer_load_dword v3, off, s[96:99], 0 offset:124 ; 4-byte Folded Reload
	s_waitcnt vmcnt(0)
	v_fma_f64 v[8:9], v[2:3], s[72:73], v[8:9]
	buffer_load_dword v2, off, s[96:99], 0 offset:112 ; 4-byte Folded Reload
	buffer_load_dword v3, off, s[96:99], 0 offset:116 ; 4-byte Folded Reload
	s_waitcnt vmcnt(0)
	v_fma_f64 v[14:15], v[2:3], s[2:3], v[14:15]
	buffer_load_dword v2, off, s[96:99], 0 offset:168 ; 4-byte Folded Reload
	buffer_load_dword v3, off, s[96:99], 0 offset:172 ; 4-byte Folded Reload
	buffer_load_dword v16, off, s[96:99], 0 offset:56 ; 4-byte Folded Reload
	buffer_load_dword v17, off, s[96:99], 0 offset:60 ; 4-byte Folded Reload
	s_waitcnt vmcnt(2)
	v_mul_f64 v[2:3], v[6:7], v[2:3]
	v_div_scale_f64 v[6:7], s[2:3], v[2:3], v[2:3], 1.0
	s_mov_b32 s2, 0xb42fdfa7
	s_mov_b32 s3, 0xbe5ae600
	v_rcp_f64_e32 v[33:34], v[6:7]
	v_fma_f64 v[42:43], -v[6:7], v[33:34], 1.0
	v_fma_f64 v[33:34], v[33:34], v[42:43], v[33:34]
	v_fma_f64 v[42:43], -v[6:7], v[33:34], 1.0
	v_fma_f64 v[33:34], v[33:34], v[42:43], v[33:34]
	v_div_scale_f64 v[42:43], vcc, 1.0, v[2:3], 1.0
	v_mul_f64 v[49:50], v[42:43], v[33:34]
	v_fma_f64 v[6:7], -v[6:7], v[49:50], v[42:43]
	s_nop 1
	v_div_fmas_f64 v[6:7], v[6:7], v[33:34], v[49:50]
                                        ; implicit-def: $vgpr33
	v_div_fixup_f64 v[34:35], v[6:7], v[2:3], 1.0
	v_mul_f64 v[2:3], v[40:41], v[40:41]
	buffer_load_dword v6, off, s[96:99], 0 offset:64 ; 4-byte Folded Reload
	buffer_load_dword v7, off, s[96:99], 0 offset:68 ; 4-byte Folded Reload
	s_waitcnt vmcnt(2)
	v_add_f64 v[2:3], v[16:17], v[2:3]
	v_mul_f64 v[18:19], v[24:25], v[2:3]
	buffer_store_dword v18, off, s[96:99], 0 offset:260 ; 4-byte Folded Spill
	s_nop 0
	buffer_store_dword v19, off, s[96:99], 0 offset:264 ; 4-byte Folded Spill
	v_add_f64 v[2:3], v[40:41], -1.0
	v_add_f64 v[40:41], v[44:45], v[44:45]
	v_mul_f64 v[40:41], v[44:45], v[40:41]
	v_mul_f64 v[44:45], v[26:27], 0.5
	s_waitcnt vmcnt(2)
	v_fma_f64 v[6:7], -v[6:7], v[2:3], v[18:19]
	buffer_load_dword v18, off, s[96:99], 0 offset:144 ; 4-byte Folded Reload
	buffer_load_dword v19, off, s[96:99], 0 offset:148 ; 4-byte Folded Reload
	v_mul_f64 v[2:3], v[2:3], v[40:41]
	v_mul_f64 v[2:3], v[2:3], v[52:53]
	s_waitcnt vmcnt(0)
	v_add_f64 v[6:7], v[6:7], -v[18:19]
	v_fma_f64 v[6:7], v[6:7], v[34:35], -v[2:3]
	buffer_load_dword v2, off, s[96:99], 0 offset:96 ; 4-byte Folded Reload
	buffer_load_dword v3, off, s[96:99], 0 offset:100 ; 4-byte Folded Reload
	s_waitcnt vmcnt(0)
	v_fma_f64 v[2:3], v[2:3], s[90:91], v[0:1]
	buffer_load_dword v0, off, s[96:99], 0 offset:80 ; 4-byte Folded Reload
	buffer_load_dword v1, off, s[96:99], 0 offset:84 ; 4-byte Folded Reload
	buffer_load_dword v18, off, s[96:99], 0 ; 4-byte Folded Reload
	buffer_load_dword v19, off, s[96:99], 0 offset:4 ; 4-byte Folded Reload
	s_waitcnt vmcnt(2)
	v_fma_f64 v[38:39], v[0:1], s[66:67], v[38:39]
	s_waitcnt vmcnt(0)
	v_mul_f64 v[0:1], v[18:19], -v[6:7]
	buffer_store_dword v0, off, s[96:99], 0 offset:128 ; 4-byte Folded Spill
	s_nop 0
	buffer_store_dword v1, off, s[96:99], 0 offset:132 ; 4-byte Folded Spill
	v_fma_f64 v[22:23], v[0:1], s[74:75], v[8:9]
	buffer_load_dword v0, off, s[96:99], 0 offset:88 ; 4-byte Folded Reload
	buffer_load_dword v1, off, s[96:99], 0 offset:92 ; 4-byte Folded Reload
	v_mov_b32_e32 v9, s3
	v_mov_b32_e32 v8, s2
	s_mov_b32 s2, 0x9037ab78
	s_mov_b32 s3, 0x3e21eeb6
	s_waitcnt vmcnt(0)
	v_fma_f64 v[40:41], v[0:1], s[90:91], v[14:15]
	v_and_b32_e32 v0, 1, v48
	v_cmp_eq_u32_e32 vcc, 0, v0
	v_mul_f64 v[0:1], v[20:21], v[20:21]
	v_fma_f64 v[42:43], v[0:1], s[22:23], v[8:9]
	v_mul_f64 v[14:15], v[20:21], -v[0:1]
	v_mul_f64 v[51:52], v[0:1], v[0:1]
	v_fma_f64 v[42:43], v[0:1], v[42:43], s[24:25]
	v_fma_f64 v[42:43], v[0:1], v[42:43], s[26:27]
	;; [unrolled: 1-line block ×4, first 2 shown]
	v_mul_f64 v[44:45], v[0:1], 0.5
	v_fma_f64 v[42:43], v[0:1], v[42:43], -v[26:27]
	v_add_f64 v[49:50], -v[44:45], 1.0
	v_fma_f64 v[14:15], v[14:15], s[30:31], v[42:43]
	v_mov_b32_e32 v43, s3
	v_mov_b32_e32 v42, s2
	v_fma_f64 v[53:54], v[0:1], s[10:11], v[42:43]
	v_add_f64 v[14:15], v[20:21], -v[14:15]
	v_fma_f64 v[53:54], v[0:1], v[53:54], s[12:13]
	v_fma_f64 v[53:54], v[0:1], v[53:54], s[14:15]
	v_fma_f64 v[53:54], v[0:1], v[53:54], s[16:17]
	v_fma_f64 v[0:1], v[0:1], v[53:54], s[18:19]
	v_add_f64 v[53:54], -v[49:50], 1.0
	v_add_f64 v[44:45], v[53:54], -v[44:45]
	v_fma_f64 v[20:21], v[20:21], -v[26:27], v[44:45]
	v_fma_f64 v[0:1], v[51:52], v[0:1], v[20:21]
	v_add_f64 v[0:1], v[49:50], v[0:1]
	v_cndmask_b32_e32 v1, v1, v15, vcc
	v_cndmask_b32_e32 v0, v0, v14, vcc
	v_xor_b32_e32 v1, v1, v4
	v_mov_b32_e32 v14, 0x7ff80000
	v_cndmask_b32_e64 v0, 0, v0, s[0:1]
	v_cndmask_b32_e64 v1, v14, v1, s[0:1]
	v_mul_f64 v[4:5], v[0:1], v[0:1]
	v_cmp_gt_f64_e32 vcc, s[52:53], v[0:1]
	v_cndmask_b32_e32 v53, v5, v11, vcc
	v_mov_b32_e32 v5, 0x97d889bc
	v_cndmask_b32_e32 v52, v4, v5, vcc
	buffer_load_dword v4, off, s[96:99], 0 offset:176 ; 4-byte Folded Reload
	buffer_load_dword v5, off, s[96:99], 0 offset:180 ; 4-byte Folded Reload
	;; [unrolled: 1-line block ×4, first 2 shown]
	v_mov_b32_e32 v11, 0x3e45798e
	v_cndmask_b32_e32 v1, v1, v11, vcc
	v_mov_b32_e32 v11, 0xe2308c3a
	v_cndmask_b32_e32 v0, v0, v11, vcc
	v_mul_f64 v[0:1], -v[0:1], v[12:13]
	v_mul_f64 v[11:12], v[52:53], v[52:53]
	v_div_scale_f64 v[20:21], s[0:1], v[11:12], v[11:12], v[56:57]
	v_cmp_class_f64_e64 s[0:1], v[61:62], s60
	v_rcp_f64_e32 v[26:27], v[20:21]
	v_fma_f64 v[44:45], -v[20:21], v[26:27], 1.0
	v_fma_f64 v[26:27], v[26:27], v[44:45], v[26:27]
	v_fma_f64 v[44:45], -v[20:21], v[26:27], 1.0
	v_fma_f64 v[26:27], v[26:27], v[44:45], v[26:27]
	v_div_scale_f64 v[44:45], vcc, v[56:57], v[11:12], v[56:57]
	s_waitcnt vmcnt(0)
	v_fma_f64 v[4:5], v[4:5], -2.0, v[6:7]
	v_mul_f64 v[48:49], v[44:45], v[26:27]
	v_add_f64 v[4:5], v[16:17], v[4:5]
	buffer_store_dword v22, off, s[96:99], 0 offset:252 ; 4-byte Folded Spill
	s_nop 0
	buffer_store_dword v23, off, s[96:99], 0 offset:256 ; 4-byte Folded Spill
	buffer_store_dword v4, off, s[96:99], 0 offset:320 ; 4-byte Folded Spill
	s_nop 0
	buffer_store_dword v5, off, s[96:99], 0 offset:324 ; 4-byte Folded Spill
	buffer_load_dword v6, off, s[96:99], 0 offset:192 ; 4-byte Folded Reload
	buffer_load_dword v7, off, s[96:99], 0 offset:196 ; 4-byte Folded Reload
	v_fma_f64 v[20:21], -v[20:21], v[48:49], v[44:45]
	v_div_fmas_f64 v[20:21], v[20:21], v[26:27], v[48:49]
	v_div_fixup_f64 v[11:12], v[20:21], v[11:12], v[56:57]
	v_add_f64 v[11:12], v[11:12], -v[16:17]
	v_mul_f64 v[0:1], v[11:12], v[0:1]
	v_mul_f64 v[4:5], v[4:5], -v[22:23]
	s_waitcnt vmcnt(0)
	v_mul_f64 v[0:1], v[0:1], v[6:7]
	v_mul_f64 v[4:5], v[4:5], v[6:7]
	;; [unrolled: 1-line block ×4, first 2 shown]
	buffer_store_dword v4, off, s[96:99], 0 offset:208 ; 4-byte Folded Spill
	s_nop 0
	buffer_store_dword v5, off, s[96:99], 0 offset:212 ; 4-byte Folded Spill
	v_fma_f64 v[26:27], v[4:5], s[88:89], v[2:3]
	buffer_load_dword v2, off, s[96:99], 0 offset:160 ; 4-byte Folded Reload
	buffer_load_dword v3, off, s[96:99], 0 offset:164 ; 4-byte Folded Reload
	s_nop 0
	buffer_store_dword v0, off, s[96:99], 0 offset:200 ; 4-byte Folded Spill
	s_nop 0
	buffer_store_dword v1, off, s[96:99], 0 offset:204 ; 4-byte Folded Spill
	v_mul_f64 v[6:7], v[26:27], v[26:27]
	v_fma_f64 v[4:5], v[0:1], s[88:89], v[40:41]
	v_mul_f64 v[0:1], v[31:32], v[31:32]
	s_waitcnt vmcnt(2)
	v_fma_f64 v[2:3], v[2:3], s[68:69], v[38:39]
	v_mul_f64 v[11:12], v[0:1], 0.5
	v_fma_f64 v[40:41], v[0:1], s[10:11], v[42:43]
	v_fma_f64 v[8:9], v[0:1], s[22:23], v[8:9]
	v_add_f64 v[20:21], -v[11:12], 1.0
	v_fma_f64 v[40:41], v[0:1], v[40:41], s[12:13]
	v_fma_f64 v[8:9], v[0:1], v[8:9], s[24:25]
	v_add_f64 v[38:39], -v[20:21], 1.0
	v_fma_f64 v[40:41], v[0:1], v[40:41], s[14:15]
	v_fma_f64 v[8:9], v[0:1], v[8:9], s[26:27]
	v_add_f64 v[11:12], v[38:39], -v[11:12]
	v_fma_f64 v[40:41], v[0:1], v[40:41], s[16:17]
	v_mul_f64 v[38:39], v[0:1], v[0:1]
	v_fma_f64 v[11:12], v[31:32], -v[36:37], v[11:12]
	v_fma_f64 v[40:41], v[0:1], v[40:41], s[18:19]
	v_fma_f64 v[11:12], v[38:39], v[40:41], v[11:12]
	v_mul_f64 v[38:39], v[36:37], 0.5
	v_add_f64 v[12:13], v[20:21], v[11:12]
	v_fma_f64 v[20:21], v[0:1], v[8:9], s[28:29]
	v_mul_f64 v[8:9], v[31:32], -v[0:1]
	v_fma_f64 v[20:21], v[8:9], v[20:21], v[38:39]
	v_fma_f64 v[20:21], v[0:1], v[20:21], -v[36:37]
	v_fma_f64 v[0:1], v[8:9], s[30:31], v[20:21]
	v_and_b32_e32 v8, 1, v10
	v_cmp_eq_u32_e32 vcc, 0, v8
	v_lshlrev_b32_e32 v8, 30, v10
	v_and_b32_e32 v8, 0x80000000, v8
	v_add_f64 v[0:1], v[31:32], -v[0:1]
	v_xor_b32_e32 v1, 0x80000000, v1
	v_cndmask_b32_e32 v1, v1, v13, vcc
	v_cndmask_b32_e32 v0, v0, v12, vcc
	v_xor_b32_e32 v1, v1, v8
	v_cndmask_b32_e64 v0, 0, v0, s[0:1]
	v_cndmask_b32_e64 v1, v14, v1, s[0:1]
	buffer_store_dword v0, off, s[96:99], 0 offset:284 ; 4-byte Folded Spill
	s_nop 0
	buffer_store_dword v1, off, s[96:99], 0 offset:288 ; 4-byte Folded Spill
	v_mul_f64 v[0:1], v[0:1], v[0:1]
	v_fma_f64 v[36:37], v[16:17], v[0:1], v[6:7]
	v_div_scale_f64 v[0:1], s[2:3], v[36:37], v[36:37], 1.0
	v_rcp_f64_e32 v[8:9], v[0:1]
	v_fma_f64 v[10:11], -v[0:1], v[8:9], 1.0
	v_fma_f64 v[8:9], v[8:9], v[10:11], v[8:9]
	v_fma_f64 v[10:11], -v[0:1], v[8:9], 1.0
	v_fma_f64 v[8:9], v[8:9], v[10:11], v[8:9]
	v_div_scale_f64 v[10:11], vcc, 1.0, v[36:37], 1.0
	v_mul_f64 v[12:13], v[10:11], v[8:9]
	v_fma_f64 v[0:1], -v[0:1], v[12:13], v[10:11]
	s_nop 1
	v_div_fmas_f64 v[0:1], v[0:1], v[8:9], v[12:13]
	v_div_fixup_f64 v[0:1], v[0:1], v[36:37], 1.0
	buffer_store_dword v0, off, s[96:99], 0 offset:300 ; 4-byte Folded Spill
	s_nop 0
	buffer_store_dword v1, off, s[96:99], 0 offset:304 ; 4-byte Folded Spill
	v_mul_f64 v[0:1], v[0:1], -v[4:5]
	v_mul_f64 v[0:1], v[18:19], v[0:1]
	buffer_store_dword v0, off, s[96:99], 0 offset:312 ; 4-byte Folded Spill
	s_nop 0
	buffer_store_dword v1, off, s[96:99], 0 offset:316 ; 4-byte Folded Spill
	v_fma_f64 v[60:61], v[0:1], s[84:85], v[2:3]
                                        ; implicit-def: $vgpr0_vgpr1
                                        ; kill: killed $vgpr0_vgpr1
                                        ; implicit-def: $vgpr0_vgpr1
                                        ; kill: killed $vgpr0_vgpr1
	v_trig_preop_f64 v[48:49], |v[60:61]|, 0
	v_trig_preop_f64 v[42:43], |v[60:61]|, 1
	;; [unrolled: 1-line block ×3, first 2 shown]
	v_cmp_nlt_f64_e64 s[6:7], |v[60:61]|, s[92:93]
	v_ldexp_f64 v[8:9], |v[60:61]|, s33
	v_and_b32_e32 v32, 0x7fffffff, v61
	s_and_saveexec_b64 s[2:3], s[6:7]
	s_xor_b64 s[62:63], exec, s[2:3]
	s_cbranch_execz .LBB0_124
; %bb.123:                              ;   in Loop: Header=BB0_90 Depth=2
	v_cmp_ge_f64_e64 vcc, |v[60:61]|, s[94:95]
	s_mov_b32 s2, 0
	s_mov_b32 s3, 0x7ff00000
	;; [unrolled: 1-line block ×4, first 2 shown]
	buffer_load_dword v46, off, s[96:99], 0 offset:152 ; 4-byte Folded Reload
	buffer_load_dword v47, off, s[96:99], 0 offset:156 ; 4-byte Folded Reload
	v_cndmask_b32_e32 v1, v32, v9, vcc
	v_cndmask_b32_e32 v0, v60, v8, vcc
	v_mul_f64 v[10:11], v[48:49], v[0:1]
	v_mul_f64 v[2:3], v[42:43], v[0:1]
	;; [unrolled: 1-line block ×3, first 2 shown]
	v_fma_f64 v[12:13], v[48:49], v[0:1], -v[10:11]
	v_add_f64 v[54:55], v[2:3], v[12:13]
	v_add_f64 v[58:59], v[54:55], -v[2:3]
	v_add_f64 v[18:19], v[10:11], v[54:55]
	v_add_f64 v[12:13], v[12:13], -v[58:59]
	v_add_f64 v[58:59], v[54:55], -v[58:59]
	v_ldexp_f64 v[4:5], v[18:19], -2
	v_add_f64 v[58:59], v[2:3], -v[58:59]
	v_fract_f64_e32 v[6:7], v[4:5]
	v_cmp_neq_f64_e64 vcc, |v[4:5]|, s[2:3]
	v_add_f64 v[12:13], v[12:13], v[58:59]
	v_fma_f64 v[58:59], v[42:43], v[0:1], -v[2:3]
	v_add_f64 v[2:3], v[18:19], -v[10:11]
	v_fma_f64 v[0:1], v[40:41], v[0:1], -v[22:23]
	v_add_f64 v[50:51], v[22:23], v[58:59]
	v_add_f64 v[10:11], v[54:55], -v[2:3]
	v_add_f64 v[14:15], v[50:51], v[12:13]
	v_add_f64 v[2:3], v[10:11], v[14:15]
	v_add_f64 v[18:19], v[14:15], -v[50:51]
	v_add_f64 v[10:11], v[2:3], -v[10:11]
	;; [unrolled: 1-line block ×6, first 2 shown]
	v_add_f64 v[12:13], v[12:13], v[14:15]
	v_add_f64 v[14:15], v[50:51], -v[22:23]
	v_add_f64 v[18:19], v[58:59], -v[14:15]
	;; [unrolled: 1-line block ×4, first 2 shown]
	v_add_f64 v[14:15], v[18:19], v[14:15]
	v_add_f64 v[12:13], v[14:15], v[12:13]
	;; [unrolled: 1-line block ×4, first 2 shown]
	v_ldexp_f64 v[0:1], v[6:7], 2
	v_cndmask_b32_e32 v1, 0, v1, vcc
	v_cndmask_b32_e32 v0, 0, v0, vcc
	v_add_f64 v[4:5], v[2:3], v[0:1]
	v_cmp_gt_f64_e32 vcc, 0, v[4:5]
	v_mov_b32_e32 v4, 0x40100000
	v_cndmask_b32_e32 v31, 0, v4, vcc
	v_add_f64 v[0:1], v[0:1], v[30:31]
	v_add_f64 v[4:5], v[2:3], v[0:1]
	v_cvt_i32_f64_e32 v10, v[4:5]
	v_cvt_f64_i32_e32 v[4:5], v10
	v_add_f64 v[0:1], v[0:1], -v[4:5]
	v_add_f64 v[4:5], v[2:3], v[0:1]
	v_add_f64 v[0:1], v[4:5], -v[0:1]
	v_cmp_le_f64_e32 vcc, 0.5, v[4:5]
	v_add_f64 v[0:1], v[2:3], -v[0:1]
	v_mov_b32_e32 v2, 0x3ff00000
	v_cndmask_b32_e32 v31, 0, v2, vcc
	v_add_f64 v[2:3], v[4:5], -v[30:31]
	v_addc_co_u32_e64 v33, s[2:3], 0, v10, vcc
	v_add_f64 v[0:1], v[12:13], v[0:1]
	v_add_f64 v[4:5], v[2:3], v[0:1]
	v_add_f64 v[2:3], v[4:5], -v[2:3]
	v_add_f64 v[0:1], v[0:1], -v[2:3]
	v_mul_f64 v[2:3], v[4:5], s[38:39]
	v_fma_f64 v[12:13], v[4:5], s[38:39], -v[2:3]
	v_fma_f64 v[4:5], v[4:5], s[44:45], v[12:13]
	v_fma_f64 v[0:1], v[0:1], s[38:39], v[4:5]
	v_add_f64 v[4:5], v[2:3], v[0:1]
	buffer_store_dword v4, off, s[96:99], 0 offset:268 ; 4-byte Folded Spill
	s_nop 0
	buffer_store_dword v5, off, s[96:99], 0 offset:272 ; 4-byte Folded Spill
	v_add_f64 v[2:3], v[4:5], -v[2:3]
	v_add_f64 v[0:1], v[0:1], -v[2:3]
	buffer_store_dword v0, off, s[96:99], 0 offset:276 ; 4-byte Folded Spill
	s_nop 0
	buffer_store_dword v1, off, s[96:99], 0 offset:280 ; 4-byte Folded Spill
	s_andn2_saveexec_b64 s[2:3], s[62:63]
	s_cbranch_execz .LBB0_126
	s_branch .LBB0_125
.LBB0_124:                              ;   in Loop: Header=BB0_90 Depth=2
	s_andn2_saveexec_b64 s[2:3], s[62:63]
	s_cbranch_execz .LBB0_126
.LBB0_125:                              ;   in Loop: Header=BB0_90 Depth=2
	v_mul_f64 v[0:1], |v[60:61]|, s[46:47]
	s_mov_b32 s42, s48
	v_rndne_f64_e32 v[0:1], v[0:1]
	v_fma_f64 v[2:3], v[0:1], s[40:41], |v[60:61]|
	v_mul_f64 v[4:5], v[0:1], s[48:49]
	v_cvt_i32_f64_e32 v33, v[0:1]
	v_add_f64 v[10:11], v[2:3], v[4:5]
	v_add_f64 v[12:13], v[2:3], -v[10:11]
	v_fma_f64 v[2:3], v[0:1], s[48:49], v[2:3]
	v_add_f64 v[12:13], v[12:13], v[4:5]
	v_add_f64 v[10:11], v[10:11], -v[2:3]
	v_fma_f64 v[4:5], v[0:1], s[42:43], v[4:5]
	;; [unrolled: 3-line block ×3, first 2 shown]
	v_add_f64 v[4:5], v[2:3], v[10:11]
	buffer_store_dword v4, off, s[96:99], 0 offset:268 ; 4-byte Folded Spill
	s_nop 0
	buffer_store_dword v5, off, s[96:99], 0 offset:272 ; 4-byte Folded Spill
	v_add_f64 v[2:3], v[4:5], -v[2:3]
	v_add_f64 v[2:3], v[10:11], -v[2:3]
	buffer_store_dword v2, off, s[96:99], 0 offset:276 ; 4-byte Folded Spill
	s_nop 0
	buffer_store_dword v3, off, s[96:99], 0 offset:280 ; 4-byte Folded Spill
.LBB0_126:                              ;   in Loop: Header=BB0_90 Depth=2
	s_or_b64 exec, exec, s[2:3]
                                        ; implicit-def: $vgpr0
                                        ; kill: killed $vgpr0
                                        ; implicit-def: $vgpr0_vgpr1
                                        ; kill: killed $vgpr0_vgpr1
                                        ; implicit-def: $vgpr0_vgpr1
                                        ; kill: killed $vgpr0_vgpr1
	s_and_saveexec_b64 s[2:3], s[6:7]
	s_xor_b64 s[6:7], exec, s[2:3]
	s_cbranch_execz .LBB0_128
; %bb.127:                              ;   in Loop: Header=BB0_90 Depth=2
	v_cmp_ge_f64_e64 vcc, |v[60:61]|, s[94:95]
	s_mov_b32 s2, 0
	s_mov_b32 s3, 0x7ff00000
	;; [unrolled: 1-line block ×4, first 2 shown]
	v_cndmask_b32_e32 v1, v32, v9, vcc
	v_cndmask_b32_e32 v0, v60, v8, vcc
	v_mul_f64 v[12:13], v[48:49], v[0:1]
	v_mul_f64 v[2:3], v[42:43], v[0:1]
	v_fma_f64 v[14:15], v[48:49], v[0:1], -v[12:13]
	v_add_f64 v[18:19], v[2:3], v[14:15]
	v_add_f64 v[31:32], v[18:19], -v[2:3]
	v_add_f64 v[22:23], v[12:13], v[18:19]
	v_add_f64 v[14:15], v[14:15], -v[31:32]
	v_add_f64 v[31:32], v[18:19], -v[31:32]
	v_ldexp_f64 v[8:9], v[22:23], -2
	v_add_f64 v[31:32], v[2:3], -v[31:32]
	v_fract_f64_e32 v[48:49], v[8:9]
	v_cmp_neq_f64_e64 vcc, |v[8:9]|, s[2:3]
	v_add_f64 v[14:15], v[14:15], v[31:32]
	v_fma_f64 v[31:32], v[42:43], v[0:1], -v[2:3]
	v_mul_f64 v[42:43], v[40:41], v[0:1]
	v_add_f64 v[2:3], v[22:23], -v[12:13]
	v_add_f64 v[50:51], v[42:43], v[31:32]
	v_add_f64 v[12:13], v[18:19], -v[2:3]
	v_fma_f64 v[0:1], v[40:41], v[0:1], -v[42:43]
	v_add_f64 v[54:55], v[50:51], v[14:15]
	v_add_f64 v[18:19], v[54:55], -v[50:51]
	v_add_f64 v[2:3], v[12:13], v[54:55]
	v_add_f64 v[14:15], v[14:15], -v[18:19]
	v_add_f64 v[18:19], v[54:55], -v[18:19]
	;; [unrolled: 1-line block ×5, first 2 shown]
	v_add_f64 v[14:15], v[14:15], v[18:19]
	v_add_f64 v[18:19], v[50:51], -v[42:43]
	v_add_f64 v[22:23], v[31:32], -v[18:19]
	;; [unrolled: 1-line block ×4, first 2 shown]
	v_add_f64 v[18:19], v[22:23], v[18:19]
	v_add_f64 v[14:15], v[18:19], v[14:15]
	;; [unrolled: 1-line block ×4, first 2 shown]
	v_ldexp_f64 v[0:1], v[48:49], 2
	v_cndmask_b32_e32 v1, 0, v1, vcc
	v_cndmask_b32_e32 v0, 0, v0, vcc
	v_add_f64 v[8:9], v[2:3], v[0:1]
	v_cmp_gt_f64_e32 vcc, 0, v[8:9]
	v_mov_b32_e32 v8, 0x40100000
	v_cndmask_b32_e32 v31, 0, v8, vcc
	v_add_f64 v[0:1], v[0:1], v[30:31]
	v_add_f64 v[8:9], v[2:3], v[0:1]
	v_cvt_i32_f64_e32 v10, v[8:9]
	v_cvt_f64_i32_e32 v[8:9], v10
	v_add_f64 v[0:1], v[0:1], -v[8:9]
	v_add_f64 v[8:9], v[2:3], v[0:1]
	v_add_f64 v[0:1], v[8:9], -v[0:1]
	v_cmp_le_f64_e32 vcc, 0.5, v[8:9]
	v_add_f64 v[0:1], v[2:3], -v[0:1]
	v_addc_co_u32_e64 v2, s[2:3], 0, v10, vcc
	buffer_store_dword v2, off, s[96:99], 0 offset:240 ; 4-byte Folded Spill
	v_mov_b32_e32 v2, 0x3ff00000
	v_cndmask_b32_e32 v31, 0, v2, vcc
	v_add_f64 v[2:3], v[8:9], -v[30:31]
	v_add_f64 v[0:1], v[12:13], v[0:1]
	v_add_f64 v[8:9], v[2:3], v[0:1]
	v_add_f64 v[2:3], v[8:9], -v[2:3]
	v_mul_f64 v[12:13], v[8:9], s[38:39]
	v_add_f64 v[0:1], v[0:1], -v[2:3]
	v_fma_f64 v[2:3], v[8:9], s[38:39], -v[12:13]
	v_fma_f64 v[2:3], v[8:9], s[44:45], v[2:3]
	v_fma_f64 v[0:1], v[0:1], s[38:39], v[2:3]
	v_add_f64 v[2:3], v[12:13], v[0:1]
	buffer_store_dword v2, off, s[96:99], 0 offset:244 ; 4-byte Folded Spill
	s_nop 0
	buffer_store_dword v3, off, s[96:99], 0 offset:248 ; 4-byte Folded Spill
	v_add_f64 v[8:9], v[2:3], -v[12:13]
	v_add_f64 v[0:1], v[0:1], -v[8:9]
	buffer_store_dword v0, off, s[96:99], 0 offset:292 ; 4-byte Folded Spill
	s_nop 0
	buffer_store_dword v1, off, s[96:99], 0 offset:296 ; 4-byte Folded Spill
	s_andn2_saveexec_b64 s[2:3], s[6:7]
	s_cbranch_execnz .LBB0_129
	s_branch .LBB0_130
.LBB0_128:                              ;   in Loop: Header=BB0_90 Depth=2
	s_andn2_saveexec_b64 s[2:3], s[6:7]
	s_cbranch_execz .LBB0_130
.LBB0_129:                              ;   in Loop: Header=BB0_90 Depth=2
	v_mul_f64 v[0:1], |v[60:61]|, s[46:47]
	s_mov_b32 s42, s48
	v_rndne_f64_e32 v[0:1], v[0:1]
	v_fma_f64 v[2:3], v[0:1], s[40:41], |v[60:61]|
	v_mul_f64 v[8:9], v[0:1], s[48:49]
	v_fma_f64 v[18:19], v[0:1], s[48:49], v[2:3]
	v_add_f64 v[12:13], v[2:3], v[8:9]
	v_add_f64 v[14:15], v[2:3], -v[12:13]
	v_add_f64 v[12:13], v[12:13], -v[18:19]
	v_add_f64 v[2:3], v[14:15], v[8:9]
	v_fma_f64 v[8:9], v[0:1], s[42:43], v[8:9]
	v_add_f64 v[2:3], v[12:13], v[2:3]
	v_add_f64 v[2:3], v[2:3], -v[8:9]
	v_fma_f64 v[8:9], v[0:1], s[50:51], v[2:3]
	v_cvt_i32_f64_e32 v0, v[0:1]
	v_add_f64 v[2:3], v[18:19], v[8:9]
	buffer_store_dword v2, off, s[96:99], 0 offset:244 ; 4-byte Folded Spill
	s_nop 0
	buffer_store_dword v3, off, s[96:99], 0 offset:248 ; 4-byte Folded Spill
	v_add_f64 v[12:13], v[2:3], -v[18:19]
	v_add_f64 v[2:3], v[8:9], -v[12:13]
	buffer_store_dword v2, off, s[96:99], 0 offset:292 ; 4-byte Folded Spill
	s_nop 0
	buffer_store_dword v3, off, s[96:99], 0 offset:296 ; 4-byte Folded Spill
	buffer_store_dword v0, off, s[96:99], 0 offset:240 ; 4-byte Folded Spill
.LBB0_130:                              ;   in Loop: Header=BB0_90 Depth=2
	s_or_b64 exec, exec, s[2:3]
	buffer_load_dword v6, off, s[96:99], 0 offset:176 ; 4-byte Folded Reload
	buffer_load_dword v7, off, s[96:99], 0 offset:180 ; 4-byte Folded Reload
	;; [unrolled: 1-line block ×6, first 2 shown]
	s_waitcnt vmcnt(10)
	v_mul_f64 v[18:19], v[46:47], s[80:81]
	v_mul_f64 v[48:49], s[8:9], v[24:25]
	s_mov_b32 s88, s90
	s_mov_b32 s30, s18
	v_mov_b32_e32 v47, 0x7ff80000
	s_mov_b32 s60, s4
	s_mov_b32 s6, 0x12f684be
	s_mov_b32 s7, 0x3fa54bda
	s_mov_b32 s62, 0x5ed097b4
	s_mov_b32 s63, 0x3fd99f42
	s_mov_b32 s54, 0xed097b42
	s_mov_b32 s58, 0
	s_mov_b32 s66, 0x12f684be
	s_mov_b32 s68, 0x5ed097b4
	s_mov_b32 s84, 0
	s_mov_b32 s55, 0x3f9e3425
	s_mov_b32 s59, 0x3fd5e000
	s_mov_b32 s67, 0x3fa54bda
	s_mov_b32 s69, 0x3fd99f42
	s_mov_b32 s85, 0x3fafa000
	s_waitcnt vmcnt(2)
	v_mul_f64 v[40:41], v[12:13], s[80:81]
	v_add_f64 v[0:1], v[6:7], v[6:7]
	s_waitcnt vmcnt(0)
	v_fma_f64 v[8:9], v[12:13], s[86:87], v[2:3]
	buffer_load_dword v2, off, s[96:99], 0 offset:120 ; 4-byte Folded Reload
	buffer_load_dword v3, off, s[96:99], 0 offset:124 ; 4-byte Folded Reload
	s_waitcnt vmcnt(0)
	v_fma_f64 v[8:9], v[2:3], s[56:57], v[8:9]
	buffer_load_dword v2, off, s[96:99], 0 offset:16 ; 4-byte Folded Reload
	buffer_load_dword v3, off, s[96:99], 0 offset:20 ; 4-byte Folded Reload
	buffer_load_dword v45, off, s[96:99], 0 ; 4-byte Folded Reload
	buffer_load_dword v46, off, s[96:99], 0 offset:4 ; 4-byte Folded Reload
	buffer_load_dword v10, off, s[96:99], 0 offset:352 ; 4-byte Folded Reload
	;; [unrolled: 1-line block ×3, first 2 shown]
	s_waitcnt vmcnt(4)
	v_mul_f64 v[14:15], v[2:3], s[80:81]
	s_waitcnt vmcnt(0)
	v_mul_f64 v[2:3], v[10:11], v[45:46]
	buffer_store_dword v2, off, s[96:99], 0 offset:432 ; 4-byte Folded Spill
	s_nop 0
	buffer_store_dword v3, off, s[96:99], 0 offset:436 ; 4-byte Folded Spill
	buffer_load_dword v10, off, s[96:99], 0 offset:360 ; 4-byte Folded Reload
	buffer_load_dword v11, off, s[96:99], 0 offset:364 ; 4-byte Folded Reload
	v_mul_f64 v[22:23], v[2:3], s[80:81]
	s_waitcnt vmcnt(0)
	v_mul_f64 v[2:3], v[45:46], -v[10:11]
	buffer_store_dword v2, off, s[96:99], 0 offset:440 ; 4-byte Folded Spill
	s_nop 0
	buffer_store_dword v3, off, s[96:99], 0 offset:444 ; 4-byte Folded Spill
	v_mul_f64 v[31:32], v[2:3], s[80:81]
	buffer_load_dword v2, off, s[96:99], 0 offset:8 ; 4-byte Folded Reload
	buffer_load_dword v3, off, s[96:99], 0 offset:12 ; 4-byte Folded Reload
	s_waitcnt vmcnt(0)
	v_mul_f64 v[42:43], v[2:3], s[80:81]
	buffer_load_dword v2, off, s[96:99], 0 offset:168 ; 4-byte Folded Reload
	buffer_load_dword v3, off, s[96:99], 0 offset:172 ; 4-byte Folded Reload
	;; [unrolled: 1-line block ×4, first 2 shown]
	s_waitcnt vmcnt(2)
	v_add_f64 v[50:51], v[2:3], -v[24:25]
	buffer_load_dword v2, off, s[96:99], 0 offset:216 ; 4-byte Folded Reload
	buffer_load_dword v3, off, s[96:99], 0 offset:220 ; 4-byte Folded Reload
	s_waitcnt vmcnt(2)
	v_mul_f64 v[50:51], v[56:57], v[50:51]
	s_waitcnt vmcnt(0)
	v_div_scale_f64 v[54:55], s[2:3], v[2:3], v[2:3], v[50:51]
	v_rcp_f64_e32 v[58:59], v[54:55]
	v_fma_f64 v[10:11], -v[54:55], v[58:59], 1.0
	v_fma_f64 v[10:11], v[58:59], v[10:11], v[58:59]
	v_fma_f64 v[58:59], -v[54:55], v[10:11], 1.0
	v_fma_f64 v[10:11], v[10:11], v[58:59], v[10:11]
	v_div_scale_f64 v[58:59], vcc, v[50:51], v[2:3], v[50:51]
	v_mul_f64 v[16:17], v[58:59], v[10:11]
	v_fma_f64 v[54:55], -v[54:55], v[16:17], v[58:59]
	s_nop 1
	v_div_fmas_f64 v[10:11], v[54:55], v[10:11], v[16:17]
	v_div_fixup_f64 v[10:11], v[10:11], v[2:3], v[50:51]
	buffer_load_dword v2, off, s[96:99], 0 offset:260 ; 4-byte Folded Reload
	buffer_load_dword v3, off, s[96:99], 0 offset:264 ; 4-byte Folded Reload
	v_fma_f64 v[10:11], s[8:9], v[24:25], v[10:11]
	v_mul_f64 v[10:11], v[34:35], -v[10:11]
	s_waitcnt vmcnt(0)
	v_fma_f64 v[16:17], -v[56:57], v[48:49], v[2:3]
	buffer_load_dword v2, off, s[96:99], 0 offset:96 ; 4-byte Folded Reload
	buffer_load_dword v3, off, s[96:99], 0 offset:100 ; 4-byte Folded Reload
	buffer_load_dword v24, off, s[96:99], 0 offset:80 ; 4-byte Folded Reload
	buffer_load_dword v25, off, s[96:99], 0 offset:84 ; 4-byte Folded Reload
	v_fma_f64 v[16:17], v[16:17], v[34:35], 1.0
	s_waitcnt vmcnt(2)
	v_fma_f64 v[14:15], v[2:3], s[82:83], -v[14:15]
	v_mul_f64 v[2:3], v[45:46], v[10:11]
	buffer_store_dword v2, off, s[96:99], 0 offset:260 ; 4-byte Folded Spill
	s_nop 0
	buffer_store_dword v3, off, s[96:99], 0 offset:264 ; 4-byte Folded Spill
	s_waitcnt vmcnt(2)
	v_fma_f64 v[18:19], v[24:25], s[82:83], -v[18:19]
	v_fma_f64 v[10:11], v[2:3], s[82:83], -v[22:23]
	v_mul_f64 v[2:3], v[45:46], -v[16:17]
	buffer_store_dword v2, off, s[96:99], 0 offset:448 ; 4-byte Folded Spill
	s_nop 0
	buffer_store_dword v3, off, s[96:99], 0 offset:452 ; 4-byte Folded Spill
	buffer_load_dword v4, off, s[96:99], 0 offset:128 ; 4-byte Folded Reload
	buffer_load_dword v5, off, s[96:99], 0 offset:132 ; 4-byte Folded Reload
	v_fma_f64 v[16:17], v[2:3], s[82:83], -v[31:32]
	buffer_load_dword v2, off, s[96:99], 0 offset:88 ; 4-byte Folded Reload
	buffer_load_dword v3, off, s[96:99], 0 offset:92 ; 4-byte Folded Reload
	s_waitcnt vmcnt(2)
	v_fma_f64 v[31:32], v[4:5], s[82:83], -v[40:41]
	v_fma_f64 v[8:9], v[4:5], s[90:91], v[8:9]
	s_waitcnt vmcnt(0)
	v_fma_f64 v[34:35], v[2:3], s[82:83], -v[42:43]
	buffer_load_dword v2, off, s[96:99], 0 offset:320 ; 4-byte Folded Reload
	buffer_load_dword v3, off, s[96:99], 0 offset:324 ; 4-byte Folded Reload
	s_waitcnt vmcnt(0)
	v_mul_f64 v[22:23], v[2:3], v[28:29]
	v_add_f64 v[28:29], v[28:29], -v[0:1]
	buffer_load_dword v54, off, s[96:99], 0 offset:56 ; 4-byte Folded Reload
	buffer_load_dword v55, off, s[96:99], 0 offset:60 ; 4-byte Folded Reload
	;; [unrolled: 1-line block ×4, first 2 shown]
	v_div_scale_f64 v[24:25], s[2:3], v[22:23], v[22:23], 1.0
	v_mul_f64 v[28:29], v[56:57], v[28:29]
	v_rcp_f64_e32 v[40:41], v[24:25]
	v_fma_f64 v[42:43], -v[24:25], v[40:41], 1.0
	v_fma_f64 v[40:41], v[40:41], v[42:43], v[40:41]
	v_fma_f64 v[42:43], -v[24:25], v[40:41], 1.0
	v_fma_f64 v[40:41], v[40:41], v[42:43], v[40:41]
	v_div_scale_f64 v[42:43], vcc, 1.0, v[22:23], 1.0
	v_mul_f64 v[48:49], v[42:43], v[40:41]
	v_fma_f64 v[24:25], -v[24:25], v[48:49], v[42:43]
	s_nop 1
	v_div_fmas_f64 v[24:25], v[24:25], v[40:41], v[48:49]
	v_div_scale_f64 v[40:41], s[2:3], v[52:53], v[52:53], v[28:29]
	s_mov_b32 s2, 0xb42fdfa7
	s_mov_b32 s3, 0xbe5ae600
	v_div_fixup_f64 v[22:23], v[24:25], v[22:23], 1.0
	v_rcp_f64_e32 v[42:43], v[40:41]
	v_mul_f64 v[24:25], s[8:9], v[0:1]
	v_fma_f64 v[48:49], -v[40:41], v[42:43], 1.0
	v_fma_f64 v[42:43], v[42:43], v[48:49], v[42:43]
	v_fma_f64 v[48:49], -v[40:41], v[42:43], 1.0
	v_fma_f64 v[42:43], v[42:43], v[48:49], v[42:43]
	v_div_scale_f64 v[48:49], vcc, v[28:29], v[52:53], v[28:29]
	v_mul_f64 v[50:51], v[48:49], v[42:43]
	v_fma_f64 v[40:41], -v[40:41], v[50:51], v[48:49]
	s_nop 1
	v_div_fmas_f64 v[40:41], v[40:41], v[42:43], v[50:51]
	v_div_fixup_f64 v[28:29], v[40:41], v[52:53], v[28:29]
	buffer_load_dword v52, off, s[96:99], 0 offset:64 ; 4-byte Folded Reload
	buffer_load_dword v53, off, s[96:99], 0 offset:68 ; 4-byte Folded Reload
	;; [unrolled: 1-line block ×4, first 2 shown]
	v_fma_f64 v[28:29], s[8:9], v[0:1], v[28:29]
	v_mul_f64 v[40:41], v[22:23], -v[28:29]
	s_waitcnt vmcnt(4)
	v_add_f64 v[28:29], v[54:55], v[2:3]
	buffer_load_dword v2, off, s[96:99], 0 offset:252 ; 4-byte Folded Reload
	buffer_load_dword v3, off, s[96:99], 0 offset:256 ; 4-byte Folded Reload
	v_mul_f64 v[0:1], v[0:1], v[28:29]
	v_add_f64 v[28:29], v[6:7], -1.0
	v_fma_f64 v[24:25], -v[56:57], v[24:25], v[0:1]
	v_fma_f64 v[24:25], v[24:25], v[22:23], 1.0
	s_waitcnt vmcnt(4)
	v_fma_f64 v[0:1], -v[52:53], v[28:29], v[0:1]
	s_waitcnt vmcnt(2)
	v_add_f64 v[0:1], v[0:1], -v[38:39]
	s_waitcnt vmcnt(0)
	v_add_f64 v[42:43], v[2:3], v[2:3]
	v_mul_f64 v[6:7], v[2:3], v[42:43]
	buffer_load_dword v2, off, s[96:99], 0 offset:192 ; 4-byte Folded Reload
	buffer_load_dword v3, off, s[96:99], 0 offset:196 ; 4-byte Folded Reload
	v_mul_f64 v[6:7], v[28:29], v[6:7]
	buffer_load_dword v28, off, s[96:99], 0 offset:208 ; 4-byte Folded Reload
	buffer_load_dword v29, off, s[96:99], 0 offset:212 ; 4-byte Folded Reload
	s_waitcnt vmcnt(2)
	v_mul_f64 v[6:7], v[6:7], v[2:3]
	s_waitcnt vmcnt(0)
	v_fma_f64 v[2:3], v[28:29], s[36:37], v[14:15]
	buffer_store_dword v2, off, s[96:99], 0 offset:168 ; 4-byte Folded Spill
	s_nop 0
	buffer_store_dword v3, off, s[96:99], 0 offset:172 ; 4-byte Folded Spill
	v_fma_f64 v[0:1], v[0:1], v[22:23], -v[6:7]
	buffer_load_dword v6, off, s[96:99], 0 offset:160 ; 4-byte Folded Reload
	buffer_load_dword v7, off, s[96:99], 0 offset:164 ; 4-byte Folded Reload
	s_waitcnt vmcnt(0)
	v_fma_f64 v[2:3], v[6:7], s[36:37], v[18:19]
	v_mul_f64 v[6:7], v[45:46], v[40:41]
	buffer_store_dword v2, off, s[96:99], 0 offset:192 ; 4-byte Folded Spill
	s_nop 0
	buffer_store_dword v3, off, s[96:99], 0 offset:196 ; 4-byte Folded Spill
	buffer_store_dword v6, off, s[96:99], 0 offset:252 ; 4-byte Folded Spill
	s_nop 0
	buffer_store_dword v7, off, s[96:99], 0 offset:256 ; 4-byte Folded Spill
	v_fma_f64 v[2:3], v[6:7], s[36:37], v[10:11]
	v_mul_f64 v[6:7], v[45:46], -v[24:25]
	buffer_store_dword v2, off, s[96:99], 0 offset:176 ; 4-byte Folded Spill
	s_nop 0
	buffer_store_dword v3, off, s[96:99], 0 offset:180 ; 4-byte Folded Spill
	buffer_store_dword v6, off, s[96:99], 0 offset:320 ; 4-byte Folded Spill
	s_nop 0
	buffer_store_dword v7, off, s[96:99], 0 offset:324 ; 4-byte Folded Spill
	v_fma_f64 v[2:3], v[6:7], s[36:37], v[16:17]
	buffer_store_dword v2, off, s[96:99], 0 offset:184 ; 4-byte Folded Spill
	s_nop 0
	buffer_store_dword v3, off, s[96:99], 0 offset:188 ; 4-byte Folded Spill
	buffer_load_dword v24, off, s[96:99], 0 offset:200 ; 4-byte Folded Reload
	buffer_load_dword v25, off, s[96:99], 0 offset:204 ; 4-byte Folded Reload
	v_mul_f64 v[2:3], v[45:46], -v[0:1]
	v_fma_f64 v[58:59], v[2:3], s[88:89], v[8:9]
	v_fma_f64 v[14:15], v[2:3], s[36:37], v[31:32]
	s_waitcnt vmcnt(0)
	v_fma_f64 v[0:1], v[24:25], s[36:37], v[34:35]
	buffer_store_dword v0, off, s[96:99], 0 offset:216 ; 4-byte Folded Spill
	s_nop 0
	buffer_store_dword v1, off, s[96:99], 0 offset:220 ; 4-byte Folded Spill
	buffer_load_dword v0, off, s[96:99], 0 offset:308 ; 4-byte Folded Reload
	v_mov_b32_e32 v35, s3
	v_mov_b32_e32 v34, s2
	s_mov_b32 s2, 0x9037ab78
	s_mov_b32 s3, 0x3e21eeb6
	v_mov_b32_e32 v23, s3
	v_mov_b32_e32 v22, s2
	s_waitcnt vmcnt(0)
	v_and_b32_e32 v6, 1, v0
	v_cmp_eq_u32_e32 vcc, 0, v6
	buffer_load_dword v6, off, s[96:99], 0 offset:224 ; 4-byte Folded Reload
	buffer_load_dword v7, off, s[96:99], 0 offset:228 ; 4-byte Folded Reload
	;; [unrolled: 1-line block ×6, first 2 shown]
	s_waitcnt vmcnt(4)
	v_mul_f64 v[10:11], v[6:7], v[6:7]
	s_waitcnt vmcnt(2)
	v_mul_f64 v[18:19], v[42:43], 0.5
	v_fma_f64 v[16:17], v[10:11], s[22:23], v[34:35]
	v_mul_f64 v[8:9], v[6:7], -v[10:11]
	v_fma_f64 v[40:41], v[10:11], s[10:11], v[22:23]
	v_mul_f64 v[31:32], v[10:11], v[10:11]
	v_fma_f64 v[16:17], v[10:11], v[16:17], s[24:25]
	v_fma_f64 v[40:41], v[10:11], v[40:41], s[12:13]
	;; [unrolled: 1-line block ×7, first 2 shown]
	v_fma_f64 v[16:17], v[10:11], v[16:17], -v[42:43]
	v_fma_f64 v[8:9], v[8:9], s[30:31], v[16:17]
	v_mul_f64 v[16:17], v[10:11], 0.5
	v_fma_f64 v[10:11], v[10:11], v[40:41], s[18:19]
	v_add_f64 v[8:9], v[6:7], -v[8:9]
	v_add_f64 v[18:19], -v[16:17], 1.0
	v_add_f64 v[40:41], -v[18:19], 1.0
	v_add_f64 v[16:17], v[40:41], -v[16:17]
	v_fma_f64 v[16:17], v[6:7], -v[42:43], v[16:17]
	v_fma_f64 v[10:11], v[31:32], v[10:11], v[16:17]
	v_add_f64 v[16:17], v[26:27], v[26:27]
	v_add_f64 v[10:11], v[18:19], v[10:11]
	v_cndmask_b32_e32 v6, v10, v8, vcc
	v_lshlrev_b32_e32 v8, 30, v0
	v_xor_b32_e32 v8, v8, v62
	v_cndmask_b32_e32 v7, v11, v9, vcc
	v_and_b32_e32 v8, 0x80000000, v8
	v_xor_b32_e32 v7, v7, v8
	v_cndmask_b32_e64 v8, 0, v6, s[0:1]
	v_cndmask_b32_e64 v9, v47, v7, s[0:1]
	v_mul_f64 v[10:11], v[8:9], v[8:9]
	v_cmp_gt_f64_e64 s[0:1], s[52:53], v[8:9]
	v_mov_b32_e32 v0, 0x3c9cd2b2
	v_mov_b32_e32 v62, 0x97d889bc
	v_cndmask_b32_e64 v11, v11, v0, s[0:1]
	v_mul_f64 v[0:1], v[26:27], v[26:27]
	v_cndmask_b32_e64 v10, v10, v62, s[0:1]
	v_fma_f64 v[18:19], v[26:27], -2.0, v[0:1]
	v_add_f64 v[18:19], v[54:55], v[18:19]
	v_mul_f64 v[31:32], v[18:19], v[36:37]
	v_fma_f64 v[36:37], v[26:27], -2.0, v[36:37]
	v_add_f64 v[26:27], v[26:27], -1.0
	v_mul_f64 v[18:19], v[18:19], -v[58:59]
	v_div_scale_f64 v[40:41], s[2:3], v[31:32], v[31:32], 1.0
	v_mul_f64 v[36:37], v[56:57], v[36:37]
	s_waitcnt vmcnt(0)
	v_mul_f64 v[18:19], v[18:19], v[20:21]
	v_rcp_f64_e32 v[42:43], v[40:41]
	v_fma_f64 v[48:49], -v[40:41], v[42:43], 1.0
	v_fma_f64 v[42:43], v[42:43], v[48:49], v[42:43]
	v_fma_f64 v[48:49], -v[40:41], v[42:43], 1.0
	v_fma_f64 v[42:43], v[42:43], v[48:49], v[42:43]
	v_div_scale_f64 v[48:49], vcc, 1.0, v[31:32], 1.0
	v_mul_f64 v[50:51], v[48:49], v[42:43]
	v_fma_f64 v[40:41], -v[40:41], v[50:51], v[48:49]
	s_nop 1
	v_div_fmas_f64 v[40:41], v[40:41], v[42:43], v[50:51]
	v_div_scale_f64 v[42:43], s[2:3], v[10:11], v[10:11], v[36:37]
	s_mov_b32 s2, 0
	s_mov_b32 s3, 0x3fd5e000
	v_div_fixup_f64 v[31:32], v[40:41], v[31:32], 1.0
	v_rcp_f64_e32 v[48:49], v[42:43]
	v_mul_f64 v[40:41], s[8:9], v[16:17]
	v_fma_f64 v[50:51], -v[42:43], v[48:49], 1.0
	v_fma_f64 v[48:49], v[48:49], v[50:51], v[48:49]
	v_fma_f64 v[50:51], -v[42:43], v[48:49], 1.0
	v_fma_f64 v[48:49], v[48:49], v[50:51], v[48:49]
	v_div_scale_f64 v[50:51], vcc, v[36:37], v[10:11], v[36:37]
	v_mul_f64 v[6:7], v[50:51], v[48:49]
	v_fma_f64 v[42:43], -v[42:43], v[6:7], v[50:51]
	s_nop 1
	v_div_fmas_f64 v[6:7], v[42:43], v[48:49], v[6:7]
	v_div_fixup_f64 v[6:7], v[6:7], v[10:11], v[36:37]
	v_add_f64 v[36:37], v[54:55], v[0:1]
	v_mul_f64 v[10:11], v[10:11], v[10:11]
	v_mov_b32_e32 v0, 0x3e45798e
	v_cndmask_b32_e64 v9, v9, v0, s[0:1]
	v_mov_b32_e32 v0, 0xe2308c3a
	v_cndmask_b32_e64 v8, v8, v0, s[0:1]
	v_fma_f64 v[6:7], s[8:9], v[16:17], v[6:7]
	v_mul_f64 v[16:17], v[16:17], v[36:37]
	v_mul_f64 v[6:7], v[31:32], v[6:7]
	v_fma_f64 v[36:37], -v[56:57], v[40:41], v[16:17]
	v_fma_f64 v[16:17], -v[52:53], v[26:27], v[16:17]
	v_mov_b32_e32 v53, v39
	v_mov_b32_e32 v52, v38
	v_mul_f64 v[6:7], v[45:46], v[6:7]
	v_fma_f64 v[40:41], v[36:37], v[31:32], 1.0
	v_add_f64 v[36:37], v[58:59], v[58:59]
	v_add_f64 v[16:17], v[16:17], -v[38:39]
	v_mul_f64 v[36:37], v[58:59], v[36:37]
	v_mul_f64 v[26:27], v[26:27], v[36:37]
	;; [unrolled: 1-line block ×3, first 2 shown]
	v_fma_f64 v[26:27], v[16:17], v[31:32], -v[26:27]
	buffer_load_dword v16, off, s[96:99], 0 offset:284 ; 4-byte Folded Reload
	buffer_load_dword v17, off, s[96:99], 0 offset:288 ; 4-byte Folded Reload
	;; [unrolled: 1-line block ×6, first 2 shown]
	s_waitcnt vmcnt(4)
	v_mul_f64 v[8:9], -v[8:9], v[16:17]
	s_waitcnt vmcnt(2)
	v_div_scale_f64 v[16:17], s[0:1], v[10:11], v[10:11], v[50:51]
	s_mov_b32 s0, 0xed097b42
	s_mov_b32 s1, 0x3f9e3425
	v_rcp_f64_e32 v[31:32], v[16:17]
	v_fma_f64 v[36:37], -v[16:17], v[31:32], 1.0
	v_fma_f64 v[31:32], v[31:32], v[36:37], v[31:32]
	v_fma_f64 v[36:37], -v[16:17], v[31:32], 1.0
	v_fma_f64 v[31:32], v[31:32], v[36:37], v[31:32]
	v_div_scale_f64 v[36:37], vcc, v[50:51], v[10:11], v[50:51]
	v_mul_f64 v[42:43], v[36:37], v[31:32]
	v_fma_f64 v[16:17], -v[16:17], v[42:43], v[36:37]
	s_nop 1
	v_div_fmas_f64 v[16:17], v[16:17], v[31:32], v[42:43]
	s_mov_b32 vcc_lo, 0
	s_mov_b32 vcc_hi, 0x3fafa000
	v_div_fixup_f64 v[10:11], v[16:17], v[10:11], v[50:51]
	v_add_f64 v[10:11], v[10:11], -v[54:55]
	v_mul_f64 v[8:9], v[10:11], v[8:9]
	v_mul_f64 v[10:11], v[45:46], v[18:19]
	;; [unrolled: 1-line block ×3, first 2 shown]
	s_waitcnt vmcnt(0)
	v_fma_f64 v[16:17], v[10:11], s[4:5], v[0:1]
	buffer_load_dword v0, off, s[96:99], 0 offset:312 ; 4-byte Folded Reload
	buffer_load_dword v1, off, s[96:99], 0 offset:316 ; 4-byte Folded Reload
	;; [unrolled: 1-line block ×4, first 2 shown]
	v_mul_f64 v[8:9], v[45:46], v[8:9]
	s_waitcnt vmcnt(0)
	v_fma_f64 v[0:1], v[0:1], s[4:5], v[18:19]
	buffer_store_dword v0, off, s[96:99], 0 offset:168 ; 4-byte Folded Spill
	s_nop 0
	buffer_store_dword v1, off, s[96:99], 0 offset:172 ; 4-byte Folded Spill
	buffer_load_dword v0, off, s[96:99], 0 offset:176 ; 4-byte Folded Reload
	s_nop 0
	buffer_load_dword v1, off, s[96:99], 0 offset:180 ; 4-byte Folded Reload
	s_waitcnt vmcnt(0)
	v_fma_f64 v[58:59], v[6:7], s[60:61], v[0:1]
	buffer_load_dword v0, off, s[96:99], 0 offset:184 ; 4-byte Folded Reload
	buffer_load_dword v1, off, s[96:99], 0 offset:188 ; 4-byte Folded Reload
	v_mul_f64 v[6:7], v[45:46], v[40:41]
	s_waitcnt vmcnt(0)
	v_fma_f64 v[37:38], v[6:7], s[60:61], v[0:1]
	buffer_load_dword v0, off, s[96:99], 0 offset:216 ; 4-byte Folded Reload
	buffer_load_dword v1, off, s[96:99], 0 offset:220 ; 4-byte Folded Reload
	v_mul_f64 v[6:7], v[45:46], -v[26:27]
	s_movk_i32 s60, 0x1f8
	v_fma_f64 v[26:27], v[6:7], s[4:5], v[14:15]
	s_waitcnt vmcnt(0)
	v_fma_f64 v[0:1], v[8:9], s[4:5], v[0:1]
	buffer_store_dword v0, off, s[96:99], 0 offset:176 ; 4-byte Folded Spill
	s_nop 0
	buffer_store_dword v1, off, s[96:99], 0 offset:180 ; 4-byte Folded Spill
	buffer_load_dword v14, off, s[96:99], 0 offset:48 ; 4-byte Folded Reload
	buffer_load_dword v15, off, s[96:99], 0 offset:52 ; 4-byte Folded Reload
	s_nop 0
	buffer_load_dword v0, off, s[96:99], 0 offset:8 ; 4-byte Folded Reload
	buffer_load_dword v1, off, s[96:99], 0 offset:12 ; 4-byte Folded Reload
	s_waitcnt vmcnt(0)
	v_fma_f64 v[14:15], v[0:1], s[0:1], v[14:15]
	buffer_load_dword v0, off, s[96:99], 0 offset:112 ; 4-byte Folded Reload
	buffer_load_dword v1, off, s[96:99], 0 offset:116 ; 4-byte Folded Reload
	s_waitcnt vmcnt(0)
	v_fma_f64 v[14:15], v[0:1], s[2:3], v[14:15]
	;; [unrolled: 4-line block ×3, first 2 shown]
	buffer_load_dword v0, off, s[96:99], 0 offset:40 ; 4-byte Folded Reload
	buffer_load_dword v1, off, s[96:99], 0 offset:44 ; 4-byte Folded Reload
	v_fma_f64 v[14:15], v[24:25], s[62:63], v[14:15]
	v_fma_f64 v[31:32], v[8:9], vcc, v[14:15]
	s_waitcnt vmcnt(0)
	v_fma_f64 v[8:9], v[12:13], s[0:1], v[0:1]
	buffer_load_dword v0, off, s[96:99], 0 offset:120 ; 4-byte Folded Reload
	buffer_load_dword v1, off, s[96:99], 0 offset:124 ; 4-byte Folded Reload
	s_nop 0
	buffer_store_dword v2, off, s[96:99], 0 offset:112 ; 4-byte Folded Spill
	s_nop 0
	buffer_store_dword v3, off, s[96:99], 0 offset:116 ; 4-byte Folded Spill
	s_waitcnt vmcnt(2)
	v_fma_f64 v[8:9], v[0:1], s[2:3], v[8:9]
	v_fma_f64 v[8:9], v[4:5], s[6:7], v[8:9]
	;; [unrolled: 1-line block ×3, first 2 shown]
	v_fma_f64 v[14:15], v[6:7], vcc, v[8:9]
	buffer_load_dword v6, off, s[96:99], 0 offset:32 ; 4-byte Folded Reload
	buffer_load_dword v7, off, s[96:99], 0 offset:36 ; 4-byte Folded Reload
	;; [unrolled: 1-line block ×4, first 2 shown]
	s_waitcnt vmcnt(0)
	v_fma_f64 v[6:7], v[0:1], s[0:1], v[6:7]
	buffer_load_dword v0, off, s[96:99], 0 offset:104 ; 4-byte Folded Reload
	buffer_load_dword v1, off, s[96:99], 0 offset:108 ; 4-byte Folded Reload
	s_waitcnt vmcnt(0)
	v_fma_f64 v[6:7], v[0:1], s[2:3], v[6:7]
	buffer_load_dword v0, off, s[96:99], 0 offset:96 ; 4-byte Folded Reload
	buffer_load_dword v1, off, s[96:99], 0 offset:100 ; 4-byte Folded Reload
	;; [unrolled: 4-line block ×3, first 2 shown]
	buffer_load_dword v2, off, s[96:99], 0 offset:276 ; 4-byte Folded Reload
	buffer_load_dword v3, off, s[96:99], 0 offset:280 ; 4-byte Folded Reload
	v_fma_f64 v[6:7], v[28:29], s[62:63], v[6:7]
	v_fma_f64 v[18:19], v[10:11], vcc, v[6:7]
	v_and_b32_e32 v6, 1, v33
	v_cmp_eq_u32_e64 s[0:1], 0, v6
	v_cmp_class_f64_e64 vcc, v[60:61], s60
	s_waitcnt vmcnt(2)
	v_mul_f64 v[6:7], v[0:1], v[0:1]
	s_waitcnt vmcnt(0)
	v_mul_f64 v[39:40], v[2:3], 0.5
	v_fma_f64 v[10:11], v[6:7], s[22:23], v[34:35]
	v_mul_f64 v[8:9], v[0:1], -v[6:7]
	v_fma_f64 v[43:44], v[6:7], s[10:11], v[22:23]
	v_mul_f64 v[41:42], v[6:7], v[6:7]
	v_fma_f64 v[10:11], v[6:7], v[10:11], s[24:25]
	v_fma_f64 v[43:44], v[6:7], v[43:44], s[12:13]
	;; [unrolled: 1-line block ×7, first 2 shown]
	v_fma_f64 v[10:11], v[6:7], v[10:11], -v[2:3]
	v_fma_f64 v[8:9], v[8:9], s[30:31], v[10:11]
	v_mul_f64 v[10:11], v[6:7], 0.5
	v_fma_f64 v[6:7], v[6:7], v[43:44], s[18:19]
	v_add_f64 v[8:9], v[0:1], -v[8:9]
	v_add_f64 v[39:40], -v[10:11], 1.0
	v_add_f64 v[43:44], -v[39:40], 1.0
	v_add_f64 v[10:11], v[43:44], -v[10:11]
	v_fma_f64 v[4:5], v[0:1], -v[2:3], v[10:11]
	buffer_load_dword v0, off, s[96:99], 0 offset:244 ; 4-byte Folded Reload
	buffer_load_dword v1, off, s[96:99], 0 offset:248 ; 4-byte Folded Reload
	;; [unrolled: 1-line block ×4, first 2 shown]
	v_fma_f64 v[4:5], v[41:42], v[6:7], v[4:5]
	v_lshlrev_b32_e32 v6, 30, v33
	v_xor_b32_e32 v6, v6, v61
	v_and_b32_e32 v6, 0x80000000, v6
	v_add_f64 v[4:5], v[39:40], v[4:5]
	v_cndmask_b32_e64 v4, v4, v8, s[0:1]
	v_cndmask_b32_e64 v5, v5, v9, s[0:1]
	v_xor_b32_e32 v5, v5, v6
	v_cndmask_b32_e32 v4, 0, v4, vcc
	v_cndmask_b32_e32 v5, v47, v5, vcc
	s_waitcnt vmcnt(2)
	v_mul_f64 v[8:9], v[0:1], v[0:1]
	v_mul_f64 v[6:7], v[8:9], 0.5
	v_fma_f64 v[39:40], v[8:9], s[10:11], v[22:23]
	v_add_f64 v[10:11], -v[6:7], 1.0
	v_fma_f64 v[39:40], v[8:9], v[39:40], s[12:13]
	v_add_f64 v[20:21], -v[10:11], 1.0
	v_fma_f64 v[39:40], v[8:9], v[39:40], s[14:15]
	v_add_f64 v[6:7], v[20:21], -v[6:7]
	v_fma_f64 v[39:40], v[8:9], v[39:40], s[16:17]
	v_mul_f64 v[20:21], v[8:9], v[8:9]
	s_waitcnt vmcnt(0)
	v_fma_f64 v[6:7], v[0:1], -v[2:3], v[6:7]
	v_fma_f64 v[39:40], v[8:9], v[39:40], s[18:19]
	v_fma_f64 v[6:7], v[20:21], v[39:40], v[6:7]
	v_add_f64 v[20:21], v[10:11], v[6:7]
	v_fma_f64 v[6:7], v[8:9], s[22:23], v[34:35]
	v_mul_f64 v[33:34], v[0:1], -v[8:9]
	v_mul_f64 v[10:11], v[2:3], 0.5
	v_fma_f64 v[6:7], v[8:9], v[6:7], s[24:25]
	v_fma_f64 v[6:7], v[8:9], v[6:7], s[26:27]
	v_fma_f64 v[6:7], v[8:9], v[6:7], s[28:29]
	v_fma_f64 v[6:7], v[33:34], v[6:7], v[10:11]
	v_add_f64 v[10:11], v[18:19], v[18:19]
	v_fma_f64 v[8:9], v[8:9], v[6:7], -v[2:3]
	v_fma_f64 v[6:7], v[33:34], s[30:31], v[8:9]
	v_add_f64 v[2:3], v[0:1], -v[6:7]
	buffer_load_dword v0, off, s[96:99], 0 offset:240 ; 4-byte Folded Reload
	v_xor_b32_e32 v3, 0x80000000, v3
	s_waitcnt vmcnt(0)
	v_and_b32_e32 v6, 1, v0
	v_cmp_eq_u32_e64 s[0:1], 0, v6
	v_lshlrev_b32_e32 v6, 30, v0
	v_cndmask_b32_e64 v3, v3, v21, s[0:1]
	v_and_b32_e32 v6, 0x80000000, v6
	v_cndmask_b32_e64 v2, v2, v20, s[0:1]
	v_xor_b32_e32 v3, v3, v6
	v_cndmask_b32_e32 v33, 0, v2, vcc
	v_cndmask_b32_e32 v34, v47, v3, vcc
	v_mul_f64 v[2:3], v[4:5], v[4:5]
	v_cmp_gt_f64_e64 s[0:1], s[52:53], v[4:5]
	v_mov_b32_e32 v0, 0x3c9cd2b2
	v_cndmask_b32_e64 v13, v3, v0, s[0:1]
	v_cndmask_b32_e64 v12, v2, v62, s[0:1]
	v_mul_f64 v[2:3], v[33:34], v[33:34]
	buffer_load_dword v0, off, s[96:99], 0 offset:64 ; 4-byte Folded Reload
	buffer_load_dword v1, off, s[96:99], 0 offset:68 ; 4-byte Folded Reload
	v_mul_f64 v[2:3], v[54:55], v[2:3]
	v_fma_f64 v[6:7], v[18:19], v[18:19], v[2:3]
	v_fma_f64 v[2:3], v[18:19], v[18:19], -v[10:11]
	v_add_f64 v[2:3], v[54:55], v[2:3]
	v_mul_f64 v[8:9], v[2:3], v[6:7]
	v_mul_f64 v[2:3], v[2:3], -v[14:15]
	v_div_scale_f64 v[20:21], s[2:3], v[8:9], v[8:9], 1.0
	v_rcp_f64_e32 v[35:36], v[20:21]
	v_fma_f64 v[39:40], -v[20:21], v[35:36], 1.0
	v_fma_f64 v[35:36], v[35:36], v[39:40], v[35:36]
	v_fma_f64 v[39:40], -v[20:21], v[35:36], 1.0
	v_fma_f64 v[35:36], v[35:36], v[39:40], v[35:36]
	v_div_scale_f64 v[39:40], vcc, 1.0, v[8:9], 1.0
	v_mul_f64 v[41:42], v[39:40], v[35:36]
	v_fma_f64 v[20:21], -v[20:21], v[41:42], v[39:40]
	s_nop 1
	v_div_fmas_f64 v[20:21], v[20:21], v[35:36], v[41:42]
	v_div_fixup_f64 v[39:40], v[20:21], v[8:9], 1.0
	v_div_scale_f64 v[8:9], s[2:3], v[6:7], v[6:7], 1.0
	v_rcp_f64_e32 v[20:21], v[8:9]
	v_fma_f64 v[35:36], -v[8:9], v[20:21], 1.0
	v_fma_f64 v[20:21], v[20:21], v[35:36], v[20:21]
	v_fma_f64 v[35:36], -v[8:9], v[20:21], 1.0
	v_fma_f64 v[20:21], v[20:21], v[35:36], v[20:21]
	v_div_scale_f64 v[35:36], vcc, 1.0, v[6:7], 1.0
	v_mul_f64 v[41:42], v[35:36], v[20:21]
	v_fma_f64 v[8:9], -v[8:9], v[41:42], v[35:36]
	s_nop 1
	v_div_fmas_f64 v[8:9], v[8:9], v[20:21], v[41:42]
	v_div_fixup_f64 v[35:36], v[8:9], v[6:7], 1.0
	v_fma_f64 v[6:7], v[18:19], -2.0, v[6:7]
	v_mul_f64 v[8:9], v[2:3], v[35:36]
	v_mul_f64 v[6:7], v[56:57], v[6:7]
	v_mul_f64 v[2:3], v[35:36], -v[31:32]
	v_mul_f64 v[31:32], s[8:9], v[10:11]
	v_div_scale_f64 v[20:21], s[2:3], v[12:13], v[12:13], v[6:7]
	s_mov_b64 s[2:3], -1
	v_rcp_f64_e32 v[41:42], v[20:21]
	v_fma_f64 v[43:44], -v[20:21], v[41:42], 1.0
	v_fma_f64 v[41:42], v[41:42], v[43:44], v[41:42]
	v_fma_f64 v[43:44], -v[20:21], v[41:42], 1.0
	v_fma_f64 v[41:42], v[41:42], v[43:44], v[41:42]
	v_div_scale_f64 v[43:44], vcc, v[6:7], v[12:13], v[6:7]
	v_mul_f64 v[48:49], v[43:44], v[41:42]
	v_fma_f64 v[20:21], -v[20:21], v[48:49], v[43:44]
	s_nop 1
	v_div_fmas_f64 v[20:21], v[20:21], v[41:42], v[48:49]
	v_div_fixup_f64 v[6:7], v[20:21], v[12:13], v[6:7]
	v_fma_f64 v[6:7], s[8:9], v[10:11], v[6:7]
	v_mul_f64 v[20:21], v[39:40], -v[6:7]
	v_fma_f64 v[6:7], v[18:19], v[18:19], v[54:55]
	v_mul_f64 v[6:7], v[10:11], v[6:7]
	v_fma_f64 v[10:11], -v[56:57], v[31:32], v[6:7]
	v_mov_b32_e32 v57, v51
	v_mov_b32_e32 v56, v50
	v_fma_f64 v[31:32], v[10:11], v[39:40], 1.0
	v_add_f64 v[10:11], v[18:19], -1.0
	v_add_f64 v[18:19], v[14:15], v[14:15]
	s_waitcnt vmcnt(0)
	v_fma_f64 v[6:7], -v[0:1], v[10:11], v[6:7]
	v_mul_f64 v[14:15], v[14:15], v[18:19]
	v_mov_b32_e32 v0, 0x3e45798e
	v_cndmask_b32_e64 v5, v5, v0, s[0:1]
	v_mov_b32_e32 v0, 0xe2308c3a
	v_cndmask_b32_e64 v4, v4, v0, s[0:1]
	buffer_load_dword v0, off, s[96:99], 0 offset:168 ; 4-byte Folded Reload
	buffer_load_dword v1, off, s[96:99], 0 offset:172 ; 4-byte Folded Reload
	v_mul_f64 v[4:5], -v[4:5], v[33:34]
	v_add_f64 v[6:7], v[6:7], -v[52:53]
	v_mul_f64 v[10:11], v[10:11], v[14:15]
	v_mul_f64 v[10:11], v[10:11], v[35:36]
	v_fma_f64 v[14:15], v[6:7], v[39:40], -v[10:11]
	v_mul_f64 v[6:7], v[12:13], v[12:13]
	v_div_scale_f64 v[10:11], s[0:1], v[6:7], v[6:7], v[56:57]
	v_rcp_f64_e32 v[12:13], v[10:11]
	v_fma_f64 v[18:19], -v[10:11], v[12:13], 1.0
	v_fma_f64 v[12:13], v[12:13], v[18:19], v[12:13]
	v_fma_f64 v[18:19], -v[10:11], v[12:13], 1.0
	v_fma_f64 v[12:13], v[12:13], v[18:19], v[12:13]
	v_div_scale_f64 v[18:19], vcc, v[56:57], v[6:7], v[56:57]
	v_mul_f64 v[33:34], v[18:19], v[12:13]
	v_fma_f64 v[10:11], -v[10:11], v[33:34], v[18:19]
	v_mul_f64 v[18:19], v[45:46], v[8:9]
	s_nop 0
	v_div_fmas_f64 v[10:11], v[10:11], v[12:13], v[33:34]
	v_mul_f64 v[12:13], v[45:46], -v[14:15]
	v_div_fixup_f64 v[6:7], v[10:11], v[6:7], v[56:57]
	v_add_f64 v[6:7], v[6:7], -v[54:55]
	v_mul_f64 v[4:5], v[6:7], v[4:5]
	v_fma_f64 v[6:7], v[18:19], s[34:35], v[16:17]
	v_mul_f64 v[16:17], v[45:46], v[2:3]
	v_mul_f64 v[2:3], v[45:46], v[20:21]
	v_fma_f64 v[20:21], v[12:13], s[34:35], v[26:27]
	v_mul_f64 v[35:36], v[4:5], v[35:36]
	v_mul_f64 v[4:5], v[45:46], -v[31:32]
	s_waitcnt vmcnt(0)
	v_fma_f64 v[33:34], v[16:17], s[34:35], v[0:1]
	buffer_load_dword v0, off, s[96:99], 0 offset:176 ; 4-byte Folded Reload
	buffer_load_dword v1, off, s[96:99], 0 offset:180 ; 4-byte Folded Reload
	v_fma_f64 v[8:9], v[2:3], s[34:35], v[58:59]
	v_mul_f64 v[14:15], v[45:46], v[35:36]
	v_fma_f64 v[22:23], v[4:5], s[34:35], v[37:38]
	s_waitcnt vmcnt(0)
	v_fma_f64 v[10:11], v[14:15], s[34:35], v[0:1]
	buffer_load_dword v0, off, s[96:99], 0 offset:384 ; 4-byte Folded Reload
	buffer_load_dword v1, off, s[96:99], 0 offset:388 ; 4-byte Folded Reload
	s_waitcnt vmcnt(0)
	v_div_scale_f64 v[24:25], s[0:1], v[0:1], v[0:1], v[6:7]
	v_rcp_f64_e32 v[26:27], v[24:25]
	v_fma_f64 v[28:29], -v[24:25], v[26:27], 1.0
	v_fma_f64 v[26:27], v[26:27], v[28:29], v[26:27]
	v_fma_f64 v[28:29], -v[24:25], v[26:27], 1.0
	v_fma_f64 v[26:27], v[26:27], v[28:29], v[26:27]
	v_div_scale_f64 v[28:29], vcc, v[6:7], v[0:1], v[6:7]
	v_mul_f64 v[31:32], v[28:29], v[26:27]
	v_fma_f64 v[24:25], -v[24:25], v[31:32], v[28:29]
	s_nop 1
	v_div_fmas_f64 v[24:25], v[24:25], v[26:27], v[31:32]
	v_div_fixup_f64 v[6:7], v[24:25], v[0:1], v[6:7]
	buffer_load_dword v0, off, s[96:99], 0 offset:392 ; 4-byte Folded Reload
	buffer_load_dword v1, off, s[96:99], 0 offset:396 ; 4-byte Folded Reload
	v_max_f64 v[6:7], |v[6:7]|, 0
	s_waitcnt vmcnt(0)
	v_div_scale_f64 v[24:25], s[0:1], v[0:1], v[0:1], v[33:34]
	v_rcp_f64_e32 v[26:27], v[24:25]
	v_fma_f64 v[28:29], -v[24:25], v[26:27], 1.0
	v_fma_f64 v[26:27], v[26:27], v[28:29], v[26:27]
	v_fma_f64 v[28:29], -v[24:25], v[26:27], 1.0
	v_fma_f64 v[26:27], v[26:27], v[28:29], v[26:27]
	v_div_scale_f64 v[28:29], vcc, v[33:34], v[0:1], v[33:34]
	v_mul_f64 v[31:32], v[28:29], v[26:27]
	v_fma_f64 v[24:25], -v[24:25], v[31:32], v[28:29]
	s_nop 1
	v_div_fmas_f64 v[24:25], v[24:25], v[26:27], v[31:32]
	v_div_fixup_f64 v[24:25], v[24:25], v[0:1], v[33:34]
	buffer_load_dword v0, off, s[96:99], 0 offset:400 ; 4-byte Folded Reload
	buffer_load_dword v1, off, s[96:99], 0 offset:404 ; 4-byte Folded Reload
	v_cmp_gt_f64_e64 vcc, |v[24:25]|, v[6:7]
	v_and_b32_e32 v26, 0x7fffffff, v25
	v_cndmask_b32_e32 v6, v6, v24, vcc
	v_cndmask_b32_e32 v7, v7, v26, vcc
	s_waitcnt vmcnt(0)
	v_div_scale_f64 v[24:25], s[0:1], v[0:1], v[0:1], v[8:9]
	v_rcp_f64_e32 v[26:27], v[24:25]
	v_fma_f64 v[28:29], -v[24:25], v[26:27], 1.0
	v_fma_f64 v[26:27], v[26:27], v[28:29], v[26:27]
	v_fma_f64 v[28:29], -v[24:25], v[26:27], 1.0
	v_fma_f64 v[26:27], v[26:27], v[28:29], v[26:27]
	v_div_scale_f64 v[28:29], vcc, v[8:9], v[0:1], v[8:9]
	v_mul_f64 v[31:32], v[28:29], v[26:27]
	v_fma_f64 v[24:25], -v[24:25], v[31:32], v[28:29]
	s_nop 1
	v_div_fmas_f64 v[24:25], v[24:25], v[26:27], v[31:32]
	v_div_fixup_f64 v[8:9], v[24:25], v[0:1], v[8:9]
	buffer_load_dword v0, off, s[96:99], 0 offset:408 ; 4-byte Folded Reload
	buffer_load_dword v1, off, s[96:99], 0 offset:412 ; 4-byte Folded Reload
	v_cmp_gt_f64_e64 vcc, |v[8:9]|, v[6:7]
	v_and_b32_e32 v24, 0x7fffffff, v9
	v_cndmask_b32_e32 v9, v7, v24, vcc
	v_cndmask_b32_e32 v8, v6, v8, vcc
	;; [unrolled: 19-line block ×4, first 2 shown]
	s_waitcnt vmcnt(0)
	v_div_scale_f64 v[6:7], s[0:1], v[0:1], v[0:1], v[10:11]
	s_mov_b32 s0, 0x1e900000
	s_mov_b32 s1, 0x42d6bcc4
	v_rcp_f64_e32 v[20:21], v[6:7]
	v_fma_f64 v[22:23], -v[6:7], v[20:21], 1.0
	v_fma_f64 v[20:21], v[20:21], v[22:23], v[20:21]
	v_fma_f64 v[22:23], -v[6:7], v[20:21], 1.0
	v_fma_f64 v[20:21], v[20:21], v[22:23], v[20:21]
	v_div_scale_f64 v[22:23], vcc, v[10:11], v[0:1], v[10:11]
	v_mul_f64 v[24:25], v[22:23], v[20:21]
	v_fma_f64 v[6:7], -v[6:7], v[24:25], v[22:23]
	s_nop 1
	v_div_fmas_f64 v[6:7], v[6:7], v[20:21], v[24:25]
	v_div_fixup_f64 v[6:7], v[6:7], v[0:1], v[10:11]
	v_cmp_gt_f64_e64 vcc, |v[6:7]|, v[8:9]
	v_and_b32_e32 v10, 0x7fffffff, v7
	v_cndmask_b32_e32 v7, v9, v10, vcc
	v_cndmask_b32_e32 v6, v8, v6, vcc
	v_mul_f64 v[20:21], v[6:7], s[0:1]
                                        ; implicit-def: $vgpr10_vgpr11
	v_cmp_nge_f64_e32 vcc, 1.0, v[20:21]
	s_and_saveexec_b64 s[0:1], vcc
	s_cbranch_execz .LBB0_89
; %bb.131:                              ;   in Loop: Header=BB0_90 Depth=2
	buffer_load_dword v0, off, s[96:99], 0  ; 4-byte Folded Reload
	buffer_load_dword v1, off, s[96:99], 0 offset:4 ; 4-byte Folded Reload
	v_readlane_b32 s2, v63, 14
	v_readlane_b32 s3, v63, 15
	s_mov_b32 s2, s76
	s_mov_b32 s7, s3
	v_mov_b32_e32 v28, 0x100
	v_mov_b32_e32 v29, 0xffffff80
	;; [unrolled: 1-line block ×3, first 2 shown]
	v_writelane_b32 v63, s6, 14
	v_writelane_b32 v63, s7, 15
	s_waitcnt vmcnt(0)
	v_mul_f64 v[6:7], v[0:1], s[2:3]
	s_mov_b32 s2, 0
	s_brev_b32 s3, 8
	v_cmp_gt_f64_e32 vcc, s[2:3], v[20:21]
	v_cndmask_b32_e32 v8, 0, v28, vcc
	v_ldexp_f64 v[8:9], v[20:21], v8
	v_rsq_f64_e32 v[10:11], v[8:9]
	v_mul_f64 v[22:23], v[8:9], v[10:11]
	v_mul_f64 v[10:11], v[10:11], 0.5
	v_fma_f64 v[24:25], -v[10:11], v[22:23], 0.5
	v_fma_f64 v[22:23], v[22:23], v[24:25], v[22:23]
	v_fma_f64 v[10:11], v[10:11], v[24:25], v[10:11]
	v_fma_f64 v[26:27], -v[22:23], v[22:23], v[8:9]
	v_fma_f64 v[22:23], v[26:27], v[10:11], v[22:23]
	v_fma_f64 v[24:25], -v[22:23], v[22:23], v[8:9]
	v_fma_f64 v[10:11], v[24:25], v[10:11], v[22:23]
	v_cndmask_b32_e32 v22, 0, v29, vcc
	v_cmp_class_f64_e32 vcc, v[8:9], v31
	v_ldexp_f64 v[10:11], v[10:11], v22
	v_cndmask_b32_e32 v9, v11, v9, vcc
	v_cndmask_b32_e32 v8, v10, v8, vcc
	v_cmp_gt_f64_e32 vcc, s[2:3], v[8:9]
	v_cndmask_b32_e32 v10, 0, v28, vcc
	v_ldexp_f64 v[8:9], v[8:9], v10
	v_rsq_f64_e32 v[10:11], v[8:9]
	v_mul_f64 v[22:23], v[8:9], v[10:11]
	v_mul_f64 v[10:11], v[10:11], 0.5
	v_fma_f64 v[24:25], -v[10:11], v[22:23], 0.5
	v_fma_f64 v[22:23], v[22:23], v[24:25], v[22:23]
	v_fma_f64 v[10:11], v[10:11], v[24:25], v[10:11]
	v_fma_f64 v[26:27], -v[22:23], v[22:23], v[8:9]
	v_fma_f64 v[22:23], v[26:27], v[10:11], v[22:23]
	v_fma_f64 v[24:25], -v[22:23], v[22:23], v[8:9]
	v_fma_f64 v[10:11], v[24:25], v[10:11], v[22:23]
	v_cndmask_b32_e32 v22, 0, v29, vcc
	v_cmp_class_f64_e32 vcc, v[8:9], v31
	v_ldexp_f64 v[10:11], v[10:11], v22
	v_cndmask_b32_e32 v9, v11, v9, vcc
	v_cndmask_b32_e32 v8, v10, v8, vcc
	v_div_scale_f64 v[10:11], s[2:3], v[8:9], v[8:9], v[6:7]
	v_readlane_b32 s2, v63, 16
	v_readlane_b32 s3, v63, 17
	s_mov_b32 s2, s64
	s_mov_b32 s7, s3
	v_writelane_b32 v63, s6, 16
	v_writelane_b32 v63, s7, 17
	v_rcp_f64_e32 v[22:23], v[10:11]
	v_fma_f64 v[24:25], -v[10:11], v[22:23], 1.0
	v_fma_f64 v[22:23], v[22:23], v[24:25], v[22:23]
	v_fma_f64 v[24:25], -v[10:11], v[22:23], 1.0
	v_fma_f64 v[22:23], v[22:23], v[24:25], v[22:23]
	v_div_scale_f64 v[24:25], vcc, v[6:7], v[8:9], v[6:7]
	v_mul_f64 v[26:27], v[24:25], v[22:23]
	v_fma_f64 v[10:11], -v[10:11], v[26:27], v[24:25]
	s_nop 1
	v_div_fmas_f64 v[10:11], v[10:11], v[22:23], v[26:27]
	v_div_fixup_f64 v[8:9], v[10:11], v[8:9], v[6:7]
	v_mul_f64 v[10:11], v[0:1], s[2:3]
	v_cmp_le_f64_e32 vcc, 0, v[10:11]
	s_and_saveexec_b64 s[2:3], vcc
	s_xor_b64 s[2:3], exec, s[2:3]
	s_cbranch_execz .LBB0_135
; %bb.132:                              ;   in Loop: Header=BB0_90 Depth=2
	v_cmp_gt_f64_e32 vcc, v[8:9], v[10:11]
	s_and_saveexec_b64 s[6:7], vcc
	s_xor_b64 s[6:7], exec, s[6:7]
; %bb.133:                              ;   in Loop: Header=BB0_90 Depth=2
	v_mov_b32_e32 v11, v9
	v_mov_b32_e32 v10, v8
; %bb.134:                              ;   in Loop: Header=BB0_90 Depth=2
	s_or_b64 exec, exec, s[6:7]
                                        ; implicit-def: $vgpr8_vgpr9
.LBB0_135:                              ;   in Loop: Header=BB0_90 Depth=2
	s_andn2_saveexec_b64 s[2:3], s[2:3]
	s_cbranch_execz .LBB0_88
; %bb.136:                              ;   in Loop: Header=BB0_90 Depth=2
	v_cmp_lt_f64_e32 vcc, v[8:9], v[10:11]
	s_and_saveexec_b64 s[6:7], vcc
	s_xor_b64 s[6:7], exec, s[6:7]
	s_cbranch_execz .LBB0_87
; %bb.137:                              ;   in Loop: Header=BB0_90 Depth=2
	v_mov_b32_e32 v11, v9
	v_mov_b32_e32 v10, v8
	s_branch .LBB0_87
.LBB0_138:                              ;   in Loop: Header=BB0_78 Depth=1
	s_or_b64 exec, exec, s[20:21]
	s_mov_b32 s0, 0xa34ca0c3
	s_mov_b32 s1, 0x3f28c5c9
	v_cmp_nlt_f64_e32 vcc, s[0:1], v[20:21]
                                        ; implicit-def: $vgpr10_vgpr11
	s_and_saveexec_b64 s[0:1], vcc
	s_xor_b64 s[0:1], exec, s[0:1]
	s_cbranch_execz .LBB0_140
; %bb.139:                              ;   in Loop: Header=BB0_78 Depth=1
	buffer_load_dword v0, off, s[96:99], 0  ; 4-byte Folded Reload
	buffer_load_dword v1, off, s[96:99], 0 offset:4 ; 4-byte Folded Reload
	s_mov_b32 s2, 0
	s_mov_b32 s3, 0x40140000
	s_waitcnt vmcnt(0)
	v_mul_f64 v[10:11], v[0:1], s[2:3]
.LBB0_140:                              ;   in Loop: Header=BB0_78 Depth=1
	s_or_saveexec_b64 s[6:7], s[0:1]
	buffer_load_dword v39, off, s[96:99], 0 offset:152 ; 4-byte Folded Reload
	buffer_load_dword v40, off, s[96:99], 0 offset:156 ; 4-byte Folded Reload
	s_xor_b64 exec, exec, s[6:7]
	s_cbranch_execz .LBB0_142
; %bb.141:                              ;   in Loop: Header=BB0_78 Depth=1
	v_frexp_mant_f64_e32 v[6:7], v[20:21]
	v_readlane_b32 s0, v63, 0
	v_readlane_b32 s1, v63, 1
	s_mov_b32 s0, s18
	buffer_load_dword v0, off, s[96:99], 0 offset:504 ; 4-byte Folded Reload
	buffer_load_dword v1, off, s[96:99], 0 offset:508 ; 4-byte Folded Reload
	s_mov_b32 s2, 0x4222de17
	s_mov_b32 s3, 0x3fbdee67
	s_movk_i32 s20, 0x204
	v_cmp_gt_f64_e32 vcc, s[0:1], v[6:7]
	s_mov_b32 s62, 0x652b82fe
	s_mov_b32 s63, 0x3ff71547
	v_cndmask_b32_e64 v8, 0, 1, vcc
	v_ldexp_f64 v[6:7], v[6:7], v8
	v_add_f64 v[8:9], v[6:7], 1.0
	v_add_f64 v[24:25], v[6:7], -1.0
	v_rcp_f64_e32 v[10:11], v[8:9]
	v_add_f64 v[26:27], v[8:9], -1.0
	v_add_f64 v[6:7], v[6:7], -v[26:27]
	v_fma_f64 v[22:23], -v[8:9], v[10:11], 1.0
	v_fma_f64 v[10:11], v[22:23], v[10:11], v[10:11]
	v_fma_f64 v[22:23], -v[8:9], v[10:11], 1.0
	v_fma_f64 v[10:11], v[22:23], v[10:11], v[10:11]
	v_mul_f64 v[22:23], v[24:25], v[10:11]
	v_mul_f64 v[28:29], v[8:9], v[22:23]
	v_fma_f64 v[8:9], v[22:23], v[8:9], -v[28:29]
	v_fma_f64 v[6:7], v[22:23], v[6:7], v[8:9]
	v_add_f64 v[8:9], v[28:29], v[6:7]
	v_add_f64 v[26:27], v[24:25], -v[8:9]
	v_add_f64 v[28:29], v[8:9], -v[28:29]
	;; [unrolled: 1-line block ×5, first 2 shown]
	v_add_f64 v[6:7], v[6:7], v[8:9]
	v_add_f64 v[6:7], v[26:27], v[6:7]
	v_mul_f64 v[6:7], v[10:11], v[6:7]
	v_add_f64 v[8:9], v[22:23], v[6:7]
	v_add_f64 v[10:11], v[8:9], -v[22:23]
	v_mul_f64 v[22:23], v[8:9], v[8:9]
	v_add_f64 v[6:7], v[6:7], -v[10:11]
	v_fma_f64 v[10:11], v[8:9], v[8:9], -v[22:23]
	v_add_f64 v[24:25], v[6:7], v[6:7]
	v_fma_f64 v[10:11], v[8:9], v[24:25], v[10:11]
	v_add_f64 v[24:25], v[22:23], v[10:11]
	s_waitcnt vmcnt(0)
	v_fma_f64 v[26:27], v[24:25], s[2:3], v[0:1]
	s_mov_b32 s2, 0x3abe935a
	s_mov_b32 s3, 0x3fbe25e4
	v_add_f64 v[22:23], v[24:25], -v[22:23]
	v_mul_f64 v[33:34], v[8:9], v[24:25]
	buffer_load_dword v0, off, s[96:99], 0 offset:512 ; 4-byte Folded Reload
	buffer_load_dword v1, off, s[96:99], 0 offset:516 ; 4-byte Folded Reload
	v_fma_f64 v[26:27], v[24:25], v[26:27], s[2:3]
	s_mov_b32 s2, 0x47e6c9c2
	s_mov_b32 s3, 0x3fc110ef
	v_add_f64 v[10:11], v[10:11], -v[22:23]
	v_fma_f64 v[26:27], v[24:25], v[26:27], s[2:3]
	s_mov_b32 s2, 0xcfa74449
	s_mov_b32 s3, 0x3fc3b13b
	v_fma_f64 v[26:27], v[24:25], v[26:27], s[2:3]
	s_mov_b32 s2, 0x71bf3c30
	s_mov_b32 s3, 0x3fc745d1
	;; [unrolled: 3-line block ×5, first 2 shown]
	v_fma_f64 v[26:27], v[24:25], v[26:27], s[2:3]
	s_mov_b32 s3, s1
	v_writelane_b32 v63, s2, 0
	v_writelane_b32 v63, s3, 1
	v_mul_f64 v[28:29], v[24:25], v[26:27]
	v_fma_f64 v[22:23], v[24:25], v[26:27], -v[28:29]
	v_fma_f64 v[22:23], v[10:11], v[26:27], v[22:23]
	v_add_f64 v[26:27], v[28:29], v[22:23]
	v_add_f64 v[31:32], v[26:27], s[0:1]
	v_add_f64 v[28:29], v[26:27], -v[28:29]
	v_readlane_b32 s0, v63, 2
	v_readlane_b32 s1, v63, 3
	s_mov_b32 s0, s18
	s_mov_b32 s3, s1
	v_writelane_b32 v63, s2, 2
	v_writelane_b32 v63, s3, 3
	v_add_f64 v[35:36], v[31:32], s[0:1]
	v_add_f64 v[22:23], v[22:23], -v[28:29]
	v_fma_f64 v[28:29], v[24:25], v[8:9], -v[33:34]
	s_mov_b32 s0, 0xd5df274d
	s_mov_b32 s1, 0x3c8543b0
	;; [unrolled: 1-line block ×4, first 2 shown]
	v_add_f64 v[26:27], v[26:27], -v[35:36]
	v_add_f64 v[22:23], v[22:23], s[0:1]
	v_fma_f64 v[24:25], v[24:25], v[6:7], v[28:29]
	s_mov_b32 s0, 0xfefa39ef
	s_mov_b32 s1, 0x3fe62e42
	v_ldexp_f64 v[6:7], v[6:7], 1
	v_add_f64 v[22:23], v[22:23], v[26:27]
	v_fma_f64 v[10:11], v[10:11], v[8:9], v[24:25]
	v_ldexp_f64 v[8:9], v[8:9], 1
	v_add_f64 v[24:25], v[31:32], v[22:23]
	v_add_f64 v[26:27], v[33:34], v[10:11]
	v_add_f64 v[28:29], v[31:32], -v[24:25]
	v_mul_f64 v[31:32], v[26:27], v[24:25]
	v_add_f64 v[33:34], v[26:27], -v[33:34]
	v_add_f64 v[22:23], v[22:23], v[28:29]
	v_fma_f64 v[28:29], v[26:27], v[24:25], -v[31:32]
	v_add_f64 v[10:11], v[10:11], -v[33:34]
	v_fma_f64 v[22:23], v[26:27], v[22:23], v[28:29]
	v_fma_f64 v[10:11], v[10:11], v[24:25], v[22:23]
	v_frexp_exp_i32_f64_e32 v24, v[20:21]
	v_add_f64 v[22:23], v[31:32], v[10:11]
	v_subbrev_co_u32_e32 v28, vcc, 0, v24, vcc
	v_cvt_f64_i32_e32 v[28:29], v28
	v_cmp_eq_f64_e32 vcc, 1.0, v[20:21]
	v_add_f64 v[24:25], v[8:9], v[22:23]
	v_add_f64 v[26:27], v[22:23], -v[31:32]
	v_mul_f64 v[31:32], v[28:29], s[0:1]
	v_add_f64 v[8:9], v[24:25], -v[8:9]
	v_add_f64 v[10:11], v[10:11], -v[26:27]
	v_fma_f64 v[26:27], v[28:29], s[0:1], -v[31:32]
	v_add_f64 v[8:9], v[22:23], -v[8:9]
	v_add_f64 v[6:7], v[6:7], v[10:11]
	v_fma_f64 v[10:11], v[28:29], s[2:3], v[26:27]
	v_add_f64 v[6:7], v[6:7], v[8:9]
	v_add_f64 v[8:9], v[31:32], v[10:11]
	;; [unrolled: 1-line block ×3, first 2 shown]
	v_add_f64 v[31:32], v[8:9], -v[31:32]
	v_add_f64 v[26:27], v[8:9], v[22:23]
	v_add_f64 v[24:25], v[22:23], -v[24:25]
	v_add_f64 v[10:11], v[10:11], -v[31:32]
	;; [unrolled: 1-line block ×6, first 2 shown]
	v_add_f64 v[24:25], v[10:11], v[6:7]
	v_add_f64 v[8:9], v[8:9], -v[33:34]
	v_add_f64 v[8:9], v[22:23], v[8:9]
	v_add_f64 v[22:23], v[24:25], -v[10:11]
	;; [unrolled: 2-line block ×3, first 2 shown]
	v_add_f64 v[6:7], v[6:7], -v[22:23]
	v_add_f64 v[28:29], v[26:27], v[8:9]
	v_add_f64 v[10:11], v[10:11], -v[24:25]
	v_add_f64 v[22:23], v[28:29], -v[26:27]
	v_add_f64 v[6:7], v[6:7], v[10:11]
	v_mov_b32_e32 v10, 0xbfc99999
	v_mov_b32_e32 v11, 0x3ff00000
	v_cndmask_b32_e32 v11, v10, v11, vcc
	v_mov_b32_e32 v10, 0x9999999a
	v_cndmask_b32_e64 v10, v10, 0, vcc
	v_add_f64 v[8:9], v[8:9], -v[22:23]
	v_add_f64 v[6:7], v[6:7], v[8:9]
	v_add_f64 v[8:9], v[28:29], v[6:7]
	v_add_f64 v[20:21], v[8:9], -v[28:29]
	v_mul_f64 v[22:23], v[10:11], v[8:9]
	v_add_f64 v[6:7], v[6:7], -v[20:21]
	v_fma_f64 v[8:9], v[10:11], v[8:9], -v[22:23]
	v_cmp_class_f64_e64 vcc, v[22:23], s20
	v_fma_f64 v[6:7], v[10:11], v[6:7], v[8:9]
	v_add_f64 v[8:9], v[22:23], v[6:7]
	v_cndmask_b32_e32 v11, v9, v23, vcc
	v_cndmask_b32_e32 v10, v8, v22, vcc
	v_mul_f64 v[20:21], v[10:11], s[62:63]
	v_readlane_b32 s62, v63, 4
	v_readlane_b32 s63, v63, 5
	s_mov_b32 s1, s63
	s_mov_b32 s3, s63
	v_writelane_b32 v63, s2, 4
	v_writelane_b32 v63, s3, 5
	v_add_f64 v[8:9], v[8:9], -v[22:23]
	v_rndne_f64_e32 v[20:21], v[20:21]
	v_add_f64 v[6:7], v[6:7], -v[8:9]
	v_fma_f64 v[24:25], v[20:21], s[0:1], v[10:11]
	v_readlane_b32 s0, v63, 6
	v_readlane_b32 s1, v63, 7
	s_mov_b32 s3, s1
	v_writelane_b32 v63, s0, 6
	v_writelane_b32 v63, s1, 7
	s_mov_b32 s0, 0x6a5dcb37
	s_mov_b32 s1, 0x3e5ade15
	v_fma_f64 v[24:25], v[20:21], s[2:3], v[24:25]
	v_cvt_i32_f64_e32 v20, v[20:21]
	v_mov_b32_e32 v8, 0x7ff00000
	s_waitcnt vmcnt(0)
	v_fma_f64 v[26:27], v[24:25], s[0:1], v[0:1]
	s_mov_b32 s0, 0x623fde64
	s_mov_b32 s1, 0x3ec71dee
	buffer_load_dword v0, off, s[96:99], 0  ; 4-byte Folded Reload
	buffer_load_dword v1, off, s[96:99], 0 offset:4 ; 4-byte Folded Reload
	v_fma_f64 v[26:27], v[24:25], v[26:27], s[0:1]
	s_mov_b32 s0, 0x7c89e6b0
	s_mov_b32 s1, 0x3efa0199
	v_fma_f64 v[26:27], v[24:25], v[26:27], s[0:1]
	s_mov_b32 s0, 0x14761f6e
	s_mov_b32 s1, 0x3f2a01a0
	;; [unrolled: 3-line block ×3, first 2 shown]
	v_fma_f64 v[26:27], v[24:25], v[26:27], s[0:1]
	v_readlane_b32 s0, v63, 8
	v_readlane_b32 s1, v63, 9
	s_mov_b32 s1, s29
	s_mov_b32 s2, s0
	v_writelane_b32 v63, s2, 8
	v_writelane_b32 v63, s3, 9
	v_fma_f64 v[26:27], v[24:25], v[26:27], s[0:1]
	v_readlane_b32 s0, v63, 10
	v_readlane_b32 s1, v63, 11
	s_mov_b32 s1, s19
	s_mov_b32 s2, s0
	v_writelane_b32 v63, s2, 10
	v_writelane_b32 v63, s3, 11
	s_mov_b32 s2, 0
	v_fma_f64 v[26:27], v[24:25], v[26:27], s[0:1]
	s_mov_b32 s0, 0x55555511
	s_mov_b32 s1, 0x3fc55555
	;; [unrolled: 1-line block ×3, first 2 shown]
	v_cmp_ngt_f64_e64 s[2:3], s[2:3], v[10:11]
	v_readlane_b32 s62, v63, 14
	v_readlane_b32 s63, v63, 15
	s_mov_b32 s62, s76
	v_fma_f64 v[26:27], v[24:25], v[26:27], s[0:1]
	s_mov_b32 s0, 11
	s_mov_b32 s1, 0x3fe00000
	v_fma_f64 v[26:27], v[24:25], v[26:27], s[0:1]
	s_mov_b32 s0, 0
	s_mov_b32 s1, 0x7ff00000
	v_cmp_neq_f64_e64 vcc, |v[10:11]|, s[0:1]
	s_mov_b32 s0, 0
	s_mov_b32 s1, 0x40900000
	v_cmp_nlt_f64_e64 s[0:1], s[0:1], v[10:11]
	v_fma_f64 v[26:27], v[24:25], v[26:27], 1.0
	v_cndmask_b32_e32 v7, 0, v7, vcc
	v_cndmask_b32_e32 v6, 0, v6, vcc
	s_and_b64 vcc, s[2:3], s[0:1]
	v_fma_f64 v[24:25], v[24:25], v[26:27], 1.0
	s_waitcnt vmcnt(0)
	v_mul_f64 v[10:11], v[0:1], s[62:63]
	v_ldexp_f64 v[20:21], v[24:25], v20
	v_cndmask_b32_e64 v8, v8, v21, s[0:1]
	v_cndmask_b32_e64 v9, 0, v8, s[2:3]
	v_cndmask_b32_e32 v8, 0, v20, vcc
	v_fma_f64 v[6:7], v[8:9], v[6:7], v[8:9]
	v_cmp_class_f64_e64 vcc, v[8:9], s20
	s_mov_b32 s1, s63
	v_writelane_b32 v63, s0, 14
	v_writelane_b32 v63, s1, 15
	v_cndmask_b32_e32 v7, v7, v9, vcc
	v_cndmask_b32_e32 v6, v6, v8, vcc
	v_mul_f64 v[10:11], v[10:11], |v[6:7]|
.LBB0_142:                              ;   in Loop: Header=BB0_78 Depth=1
	s_or_b64 exec, exec, s[6:7]
	buffer_load_dword v6, off, s[96:99], 0 offset:32 ; 4-byte Folded Reload
	buffer_load_dword v7, off, s[96:99], 0 offset:36 ; 4-byte Folded Reload
	;; [unrolled: 1-line block ×4, first 2 shown]
	s_mov_b32 s0, 0x43b990ee
	s_mov_b32 s1, 0x3fb90ee6
	;; [unrolled: 1-line block ×4, first 2 shown]
	s_waitcnt vmcnt(0)
	v_fma_f64 v[6:7], v[0:1], s[0:1], v[6:7]
	buffer_load_dword v0, off, s[96:99], 0 offset:96 ; 4-byte Folded Reload
	buffer_load_dword v1, off, s[96:99], 0 offset:100 ; 4-byte Folded Reload
	;; [unrolled: 1-line block ×4, first 2 shown]
	s_waitcnt vmcnt(2)
	v_fma_f64 v[6:7], v[0:1], s[2:3], v[6:7]
	buffer_load_dword v0, off, s[96:99], 0 offset:208 ; 4-byte Folded Reload
	buffer_load_dword v1, off, s[96:99], 0 offset:212 ; 4-byte Folded Reload
	s_waitcnt vmcnt(2)
	v_fma_f64 v[8:9], v[39:40], s[0:1], v[20:21]
	s_mov_b32 s0, 0x76166929
	s_mov_b32 s1, 0x3fcaef9f
	s_waitcnt vmcnt(0)
	v_fma_f64 v[6:7], v[0:1], s[0:1], v[6:7]
	buffer_load_dword v0, off, s[96:99], 0 offset:80 ; 4-byte Folded Reload
	buffer_load_dword v1, off, s[96:99], 0 offset:84 ; 4-byte Folded Reload
	s_waitcnt vmcnt(0)
	v_fma_f64 v[8:9], v[0:1], s[2:3], v[8:9]
	buffer_load_dword v0, off, s[96:99], 0 offset:160 ; 4-byte Folded Reload
	buffer_load_dword v1, off, s[96:99], 0 offset:164 ; 4-byte Folded Reload
	s_mov_b32 s2, 0x85dab4b0
	s_mov_b32 s3, 0x3fd280a6
	v_fma_f64 v[18:19], v[18:19], s[2:3], v[6:7]
	s_waitcnt vmcnt(0)
	v_fma_f64 v[6:7], v[0:1], s[0:1], v[8:9]
	s_mov_b32 s0, 0
	s_mov_b32 s1, 0x40490000
	v_cmp_gt_f64_e32 vcc, s[0:1], v[18:19]
	buffer_store_dword v18, off, s[96:99], 0 offset:32 ; 4-byte Folded Spill
	s_nop 0
	buffer_store_dword v19, off, s[96:99], 0 offset:36 ; 4-byte Folded Spill
	buffer_load_dword v8, off, s[96:99], 0 offset:488 ; 4-byte Folded Reload
	buffer_load_dword v9, off, s[96:99], 0 offset:492 ; 4-byte Folded Reload
	s_waitcnt vmcnt(0)
	v_cmp_gt_f64_e64 s[0:1], v[18:19], v[8:9]
	v_fma_f64 v[8:9], v[16:17], s[2:3], v[6:7]
	s_and_b64 s[2:3], vcc, s[0:1]
	s_xor_b64 s[6:7], s[2:3], -1
	s_and_saveexec_b64 s[0:1], s[2:3]
	s_cbranch_execz .LBB0_144
; %bb.143:                              ;   in Loop: Header=BB0_78 Depth=1
	v_readlane_b32 s2, v63, 18
	v_readlane_b32 s3, v63, 19
	s_mov_b32 s3, s41
	v_add_f64 v[6:7], v[20:21], s[2:3]
	v_add_f64 v[16:17], v[8:9], s[2:3]
	s_mov_b32 s20, s2
	v_writelane_b32 v63, s20, 18
	s_andn2_b64 s[2:3], s[6:7], exec
	v_writelane_b32 v63, s21, 19
	v_mul_f64 v[6:7], v[16:17], v[6:7]
	v_cmp_ngt_f64_e32 vcc, 0, v[6:7]
	s_and_b64 s[6:7], vcc, exec
	s_or_b64 s[6:7], s[2:3], s[6:7]
.LBB0_144:                              ;   in Loop: Header=BB0_78 Depth=1
	s_or_b64 exec, exec, s[0:1]
	v_readlane_b32 s20, v63, 22
	v_readlane_b32 s21, v63, 23
	s_mov_b64 s[0:1], -1
	s_or_b64 s[20:21], s[20:21], exec
	s_and_saveexec_b64 s[2:3], s[6:7]
	s_cbranch_execz .LBB0_77
; %bb.145:                              ;   in Loop: Header=BB0_78 Depth=1
	buffer_load_dword v6, off, s[96:99], 0 offset:32 ; 4-byte Folded Reload
	buffer_load_dword v7, off, s[96:99], 0 offset:36 ; 4-byte Folded Reload
	;; [unrolled: 1-line block ×6, first 2 shown]
	s_mov_b32 s0, 0
	s_mov_b32 s1, 0x408f4000
	s_andn2_b64 s[20:21], s[20:21], exec
	s_waitcnt vmcnt(4)
	v_cmp_lt_f64_e32 vcc, s[0:1], v[6:7]
	s_waitcnt vmcnt(2)
	v_cmp_lt_f64_e64 s[0:1], 0, v[0:1]
	s_and_b64 s[0:1], vcc, s[0:1]
	s_waitcnt vmcnt(0)
	v_cmp_lt_f64_e32 vcc, v[6:7], v[16:17]
	s_or_b64 s[0:1], vcc, s[0:1]
	s_orn2_b64 s[0:1], s[0:1], exec
	s_branch .LBB0_77
.LBB0_146:
	v_readlane_b32 s0, v63, 12
	v_readlane_b32 s1, v63, 13
	s_or_b64 exec, exec, s[0:1]
	s_and_saveexec_b64 s[0:1], s[2:3]
	s_xor_b64 s[0:1], exec, s[0:1]
	s_cbranch_execz .LBB0_148
; %bb.147:
	buffer_load_dword v22, off, s[96:99], 0 offset:32 ; 4-byte Folded Reload
	buffer_load_dword v23, off, s[96:99], 0 offset:36 ; 4-byte Folded Reload
	s_mov_b32 s0, 0
	s_brev_b32 s1, 8
	v_mov_b32_e32 v8, 0x100
	v_mov_b32_e32 v20, 0xffffff80
	;; [unrolled: 1-line block ×3, first 2 shown]
	s_mov_b32 s2, 0
	s_mov_b32 s3, 0xc0080000
	s_waitcnt vmcnt(0)
	v_cmp_gt_f64_e32 vcc, s[0:1], v[22:23]
	v_cndmask_b32_e32 v0, 0, v8, vcc
	v_ldexp_f64 v[0:1], v[22:23], v0
	v_rsq_f64_e32 v[2:3], v[0:1]
	v_mul_f64 v[4:5], v[0:1], v[2:3]
	v_mul_f64 v[2:3], v[2:3], 0.5
	v_fma_f64 v[6:7], -v[2:3], v[4:5], 0.5
	v_fma_f64 v[4:5], v[4:5], v[6:7], v[4:5]
	v_fma_f64 v[2:3], v[2:3], v[6:7], v[2:3]
	v_fma_f64 v[6:7], -v[4:5], v[4:5], v[0:1]
	v_fma_f64 v[4:5], v[6:7], v[2:3], v[4:5]
	v_fma_f64 v[6:7], -v[4:5], v[4:5], v[0:1]
	v_fma_f64 v[2:3], v[6:7], v[2:3], v[4:5]
	v_cndmask_b32_e32 v6, 0, v20, vcc
	v_cmp_class_f64_e32 vcc, v[0:1], v21
	v_mul_f64 v[4:5], v[22:23], v[22:23]
	v_ldexp_f64 v[2:3], v[2:3], v6
	v_fma_f64 v[6:7], v[22:23], s[2:3], v[4:5]
	v_cndmask_b32_e32 v1, v3, v1, vcc
	v_cndmask_b32_e32 v0, v2, v0, vcc
	buffer_load_dword v2, off, s[96:99], 0 offset:520 ; 4-byte Folded Reload
	buffer_load_dword v3, off, s[96:99], 0 offset:524 ; 4-byte Folded Reload
	;; [unrolled: 1-line block ×4, first 2 shown]
	v_fma_f64 v[4:5], s[8:9], v[0:1], v[4:5]
	s_waitcnt vmcnt(2)
	v_fma_f64 v[2:3], v[2:3], v[0:1], v[6:7]
	s_waitcnt vmcnt(0)
	v_div_scale_f64 v[6:7], s[2:3], v[0:1], v[0:1], v[24:25]
	v_div_scale_f64 v[16:17], vcc, v[24:25], v[0:1], v[24:25]
	v_cmp_gt_f64_e64 s[0:1], s[0:1], v[2:3]
	v_cndmask_b32_e64 v8, 0, v8, s[0:1]
	v_ldexp_f64 v[2:3], v[2:3], v8
	v_rcp_f64_e32 v[8:9], v[6:7]
	v_rsq_f64_e32 v[10:11], v[2:3]
	v_fma_f64 v[12:13], -v[6:7], v[8:9], 1.0
	v_mul_f64 v[14:15], v[2:3], v[10:11]
	v_mul_f64 v[10:11], v[10:11], 0.5
	v_fma_f64 v[8:9], v[8:9], v[12:13], v[8:9]
	v_fma_f64 v[12:13], -v[10:11], v[14:15], 0.5
	v_fma_f64 v[18:19], -v[6:7], v[8:9], 1.0
	v_fma_f64 v[14:15], v[14:15], v[12:13], v[14:15]
	v_fma_f64 v[10:11], v[10:11], v[12:13], v[10:11]
	;; [unrolled: 1-line block ×3, first 2 shown]
	v_fma_f64 v[12:13], -v[14:15], v[14:15], v[2:3]
	v_mul_f64 v[18:19], v[16:17], v[8:9]
	v_fma_f64 v[12:13], v[12:13], v[10:11], v[14:15]
	v_fma_f64 v[6:7], -v[6:7], v[18:19], v[16:17]
	v_fma_f64 v[14:15], -v[12:13], v[12:13], v[2:3]
	v_div_fmas_f64 v[6:7], v[6:7], v[8:9], v[18:19]
	v_cmp_class_f64_e32 vcc, v[2:3], v21
	v_fma_f64 v[8:9], v[14:15], v[10:11], v[12:13]
	v_cndmask_b32_e64 v10, 0, v20, s[0:1]
	v_ldexp_f64 v[8:9], v[8:9], v10
	v_div_fixup_f64 v[0:1], v[6:7], v[0:1], v[24:25]
	v_cndmask_b32_e32 v3, v9, v3, vcc
	v_cndmask_b32_e32 v2, v8, v2, vcc
	v_mul_f64 v[6:7], v[22:23], v[2:3]
	v_div_scale_f64 v[8:9], s[0:1], v[2:3], v[2:3], v[0:1]
	v_div_scale_f64 v[10:11], s[0:1], v[6:7], v[6:7], v[4:5]
	;; [unrolled: 1-line block ×3, first 2 shown]
	v_rcp_f64_e32 v[12:13], v[8:9]
	v_rcp_f64_e32 v[14:15], v[10:11]
	v_fma_f64 v[16:17], -v[8:9], v[12:13], 1.0
	v_fma_f64 v[18:19], -v[10:11], v[14:15], 1.0
	v_fma_f64 v[12:13], v[12:13], v[16:17], v[12:13]
	v_div_scale_f64 v[16:17], vcc, v[0:1], v[2:3], v[0:1]
	v_fma_f64 v[14:15], v[14:15], v[18:19], v[14:15]
	v_fma_f64 v[18:19], -v[8:9], v[12:13], 1.0
	v_fma_f64 v[22:23], -v[10:11], v[14:15], 1.0
	v_fma_f64 v[12:13], v[12:13], v[18:19], v[12:13]
	v_fma_f64 v[14:15], v[14:15], v[22:23], v[14:15]
	v_mul_f64 v[18:19], v[16:17], v[12:13]
	v_mul_f64 v[22:23], v[20:21], v[14:15]
	v_fma_f64 v[8:9], -v[8:9], v[18:19], v[16:17]
	v_fma_f64 v[10:11], -v[10:11], v[22:23], v[20:21]
	v_div_fmas_f64 v[8:9], v[8:9], v[12:13], v[18:19]
	s_mov_b64 vcc, s[0:1]
	v_div_fmas_f64 v[10:11], v[10:11], v[14:15], v[22:23]
	v_div_fixup_f64 v[0:1], v[8:9], v[2:3], v[0:1]
	v_div_fixup_f64 v[2:3], v[10:11], v[6:7], v[4:5]
	v_add_f64 v[0:1], v[0:1], -v[2:3]
	v_div_scale_f64 v[2:3], s[0:1], v[0:1], v[0:1], -1.0
	v_div_scale_f64 v[8:9], vcc, -1.0, v[0:1], -1.0
	v_rcp_f64_e32 v[4:5], v[2:3]
	v_fma_f64 v[6:7], -v[2:3], v[4:5], 1.0
	v_fma_f64 v[4:5], v[4:5], v[6:7], v[4:5]
	v_fma_f64 v[6:7], -v[2:3], v[4:5], 1.0
	v_fma_f64 v[4:5], v[4:5], v[6:7], v[4:5]
	v_mul_f64 v[6:7], v[8:9], v[4:5]
	v_fma_f64 v[2:3], -v[2:3], v[6:7], v[8:9]
	v_div_fmas_f64 v[2:3], v[2:3], v[4:5], v[6:7]
	v_div_fixup_f64 v[0:1], v[2:3], v[0:1], -1.0
	buffer_load_dword v2, off, s[96:99], 0 offset:528 ; 4-byte Folded Reload
	buffer_load_dword v3, off, s[96:99], 0 offset:532 ; 4-byte Folded Reload
	s_waitcnt vmcnt(0)
	global_store_dwordx2 v[2:3], v[0:1], off
.LBB0_148:
	s_endpgm
	.section	.rodata,"a",@progbits
	.p2align	6, 0x0
	.amdhsa_kernel _Z5task1PdS_ii
		.amdhsa_group_segment_fixed_size 0
		.amdhsa_private_segment_fixed_size 540
		.amdhsa_kernarg_size 280
		.amdhsa_user_sgpr_count 6
		.amdhsa_user_sgpr_private_segment_buffer 1
		.amdhsa_user_sgpr_dispatch_ptr 0
		.amdhsa_user_sgpr_queue_ptr 0
		.amdhsa_user_sgpr_kernarg_segment_ptr 1
		.amdhsa_user_sgpr_dispatch_id 0
		.amdhsa_user_sgpr_flat_scratch_init 0
		.amdhsa_user_sgpr_private_segment_size 0
		.amdhsa_uses_dynamic_stack 0
		.amdhsa_system_sgpr_private_segment_wavefront_offset 1
		.amdhsa_system_sgpr_workgroup_id_x 1
		.amdhsa_system_sgpr_workgroup_id_y 1
		.amdhsa_system_sgpr_workgroup_id_z 0
		.amdhsa_system_sgpr_workgroup_info 0
		.amdhsa_system_vgpr_workitem_id 1
		.amdhsa_next_free_vgpr 64
		.amdhsa_next_free_sgpr 100
		.amdhsa_reserve_vcc 1
		.amdhsa_reserve_flat_scratch 0
		.amdhsa_float_round_mode_32 0
		.amdhsa_float_round_mode_16_64 0
		.amdhsa_float_denorm_mode_32 3
		.amdhsa_float_denorm_mode_16_64 3
		.amdhsa_dx10_clamp 1
		.amdhsa_ieee_mode 1
		.amdhsa_fp16_overflow 0
		.amdhsa_exception_fp_ieee_invalid_op 0
		.amdhsa_exception_fp_denorm_src 0
		.amdhsa_exception_fp_ieee_div_zero 0
		.amdhsa_exception_fp_ieee_overflow 0
		.amdhsa_exception_fp_ieee_underflow 0
		.amdhsa_exception_fp_ieee_inexact 0
		.amdhsa_exception_int_div_zero 0
	.end_amdhsa_kernel
	.text
.Lfunc_end0:
	.size	_Z5task1PdS_ii, .Lfunc_end0-_Z5task1PdS_ii
                                        ; -- End function
	.set _Z5task1PdS_ii.num_vgpr, 64
	.set _Z5task1PdS_ii.num_agpr, 0
	.set _Z5task1PdS_ii.numbered_sgpr, 100
	.set _Z5task1PdS_ii.num_named_barrier, 0
	.set _Z5task1PdS_ii.private_seg_size, 540
	.set _Z5task1PdS_ii.uses_vcc, 1
	.set _Z5task1PdS_ii.uses_flat_scratch, 0
	.set _Z5task1PdS_ii.has_dyn_sized_stack, 0
	.set _Z5task1PdS_ii.has_recursion, 0
	.set _Z5task1PdS_ii.has_indirect_call, 0
	.section	.AMDGPU.csdata,"",@progbits
; Kernel info:
; codeLenInByte = 58896
; TotalNumSgprs: 104
; NumVgprs: 64
; ScratchSize: 540
; MemoryBound: 1
; FloatMode: 240
; IeeeMode: 1
; LDSByteSize: 0 bytes/workgroup (compile time only)
; SGPRBlocks: 12
; VGPRBlocks: 15
; NumSGPRsForWavesPerEU: 104
; NumVGPRsForWavesPerEU: 64
; Occupancy: 4
; WaveLimiterHint : 0
; COMPUTE_PGM_RSRC2:SCRATCH_EN: 1
; COMPUTE_PGM_RSRC2:USER_SGPR: 6
; COMPUTE_PGM_RSRC2:TRAP_HANDLER: 0
; COMPUTE_PGM_RSRC2:TGID_X_EN: 1
; COMPUTE_PGM_RSRC2:TGID_Y_EN: 1
; COMPUTE_PGM_RSRC2:TGID_Z_EN: 0
; COMPUTE_PGM_RSRC2:TIDIG_COMP_CNT: 1
	.text
	.protected	_Z5task2PdS_ii          ; -- Begin function _Z5task2PdS_ii
	.globl	_Z5task2PdS_ii
	.p2align	8
	.type	_Z5task2PdS_ii,@function
_Z5task2PdS_ii:                         ; @_Z5task2PdS_ii
; %bb.0:
	s_mov_b64 s[98:99], s[2:3]
	s_mov_b64 s[96:97], s[0:1]
	s_add_u32 s96, s96, s8
	s_load_dwordx4 s[8:11], s[4:5], 0x8
	s_load_dword s2, s[4:5], 0x18
	s_load_dword s3, s[4:5], 0x24
	s_addc_u32 s97, s97, 0
	s_add_u32 s0, s4, 24
	s_addc_u32 s1, s5, 0
	s_waitcnt lgkmcnt(0)
	s_mul_i32 s2, s2, s10
	s_and_b32 s3, s3, 0xffff
	s_add_i32 s2, s2, s6
	s_mul_i32 s2, s2, s3
	v_add_u32_e32 v6, s2, v0
	s_load_dwordx2 s[12:13], s[8:9], 0x10
	v_cvt_f64_u32_e32 v[2:3], v6
	s_waitcnt lgkmcnt(0)
	v_cmp_nle_f64_e32 vcc, s[12:13], v[2:3]
	s_and_saveexec_b64 s[2:3], vcc
	s_cbranch_execz .LBB1_175
; %bb.1:
	s_load_dword s2, s[0:1], 0x4
	s_load_dword s3, s[0:1], 0xc
	s_waitcnt lgkmcnt(0)
	s_mul_i32 s0, s2, s11
	s_lshr_b32 s1, s3, 16
	s_add_i32 s0, s0, s7
	s_mul_i32 s0, s0, s1
	v_add_u32_e32 v7, s0, v1
	v_cvt_f64_u32_e32 v[4:5], v7
	v_cmp_nle_f64_e32 vcc, s[12:13], v[4:5]
	s_and_b64 exec, exec, vcc
	s_cbranch_execz .LBB1_175
; %bb.2:
                                        ; implicit-def: $vgpr63 : SGPR spill to VGPR lane
	v_mov_b32_e32 v0, 0xa1fae712
	v_writelane_b32 v63, s12, 0
	v_writelane_b32 v63, s13, 1
	s_load_dwordx4 s[12:15], s[8:9], 0x0
	v_mov_b32_e32 v1, 0x3f91df46
	s_mov_b32 s0, 0
	s_mov_b32 s1, 0x41d00000
	buffer_store_dword v6, off, s[96:99], 0 offset:8 ; 4-byte Folded Spill
	s_waitcnt lgkmcnt(0)
	v_mul_f64 v[0:1], s[14:15], v[0:1]
	v_trig_preop_f64 v[59:60], |v[0:1]|, 0
	v_trig_preop_f64 v[61:62], |v[0:1]|, 1
	;; [unrolled: 1-line block ×3, first 2 shown]
	v_cmp_nlt_f64_e64 s[6:7], |v[0:1]|, s[0:1]
	s_and_b64 vcc, exec, s[6:7]
	s_cbranch_vccz .LBB1_4
; %bb.3:
	s_mov_b32 s0, 0
	s_mov_b32 s1, 0x7b000000
	s_movk_i32 s2, 0xff80
	v_ldexp_f64 v[12:13], |v[0:1]|, s2
	v_cmp_ge_f64_e64 vcc, |v[0:1]|, s[0:1]
	v_and_b32_e32 v6, 0x7fffffff, v1
	s_mov_b32 s0, 0
	s_mov_b32 s1, 0x7ff00000
	;; [unrolled: 1-line block ×3, first 2 shown]
	v_cndmask_b32_e32 v13, v6, v13, vcc
	v_cndmask_b32_e32 v12, v0, v12, vcc
	v_mul_f64 v[14:15], v[59:60], v[12:13]
	v_mul_f64 v[16:17], v[61:62], v[12:13]
	;; [unrolled: 1-line block ×3, first 2 shown]
	v_fma_f64 v[18:19], v[59:60], v[12:13], -v[14:15]
	v_fma_f64 v[28:29], v[61:62], v[12:13], -v[16:17]
	;; [unrolled: 1-line block ×3, first 2 shown]
	v_add_f64 v[20:21], v[16:17], v[18:19]
	v_add_f64 v[22:23], v[20:21], -v[16:17]
	v_add_f64 v[30:31], v[14:15], v[20:21]
	v_add_f64 v[24:25], v[20:21], -v[22:23]
	v_add_f64 v[18:19], v[18:19], -v[22:23]
	v_add_f64 v[22:23], v[26:27], v[28:29]
	v_add_f64 v[14:15], v[30:31], -v[14:15]
	v_add_f64 v[16:17], v[16:17], -v[24:25]
	v_ldexp_f64 v[24:25], v[30:31], -2
	v_add_f64 v[14:15], v[20:21], -v[14:15]
	v_add_f64 v[16:17], v[18:19], v[16:17]
	v_fract_f64_e32 v[18:19], v[24:25]
	v_cmp_neq_f64_e64 vcc, |v[24:25]|, s[0:1]
	v_add_f64 v[20:21], v[22:23], v[16:17]
	v_ldexp_f64 v[18:19], v[18:19], 2
	v_add_f64 v[24:25], v[14:15], v[20:21]
	v_cndmask_b32_e32 v19, 0, v19, vcc
	v_cndmask_b32_e32 v18, 0, v18, vcc
	v_add_f64 v[32:33], v[20:21], -v[22:23]
	v_add_f64 v[30:31], v[24:25], v[18:19]
	v_add_f64 v[14:15], v[24:25], -v[14:15]
	v_add_f64 v[36:37], v[20:21], -v[32:33]
	;; [unrolled: 1-line block ×3, first 2 shown]
	v_cmp_gt_f64_e32 vcc, 0, v[30:31]
	v_add_f64 v[30:31], v[22:23], -v[26:27]
	v_add_f64 v[14:15], v[20:21], -v[14:15]
	s_and_b64 s[0:1], vcc, exec
	s_cselect_b32 s3, 0x40100000, 0
	v_add_f64 v[18:19], v[18:19], s[2:3]
	v_add_f64 v[34:35], v[22:23], -v[30:31]
	v_add_f64 v[28:29], v[28:29], -v[30:31]
	;; [unrolled: 1-line block ×3, first 2 shown]
	v_add_f64 v[38:39], v[24:25], v[18:19]
	v_add_f64 v[30:31], v[26:27], -v[34:35]
	v_add_f64 v[16:17], v[16:17], v[22:23]
	v_cvt_i32_f64_e32 v6, v[38:39]
	v_add_f64 v[28:29], v[28:29], v[30:31]
	v_cvt_f64_i32_e32 v[32:33], v6
	v_add_f64 v[18:19], v[18:19], -v[32:33]
	v_add_f64 v[16:17], v[28:29], v[16:17]
	v_add_f64 v[22:23], v[24:25], v[18:19]
	;; [unrolled: 1-line block ×3, first 2 shown]
	v_add_f64 v[16:17], v[22:23], -v[18:19]
	v_cmp_le_f64_e32 vcc, 0.5, v[22:23]
	v_add_f64 v[12:13], v[14:15], v[12:13]
	v_add_f64 v[14:15], v[24:25], -v[16:17]
	s_and_b64 s[0:1], vcc, exec
	s_cselect_b32 s3, 0x3ff00000, 0
	v_addc_co_u32_e64 v33, s[0:1], 0, v6, vcc
	s_mov_b32 s0, 0x54442d18
	s_mov_b32 s1, 0x3ff921fb
	v_add_f64 v[12:13], v[12:13], v[14:15]
	v_add_f64 v[14:15], v[22:23], -s[2:3]
	s_mov_b32 s2, 0x33145c07
	s_mov_b32 s3, 0x3c91a626
	v_add_f64 v[16:17], v[14:15], v[12:13]
	v_mul_f64 v[18:19], v[16:17], s[0:1]
	v_add_f64 v[14:15], v[16:17], -v[14:15]
	v_fma_f64 v[20:21], v[16:17], s[0:1], -v[18:19]
	v_add_f64 v[12:13], v[12:13], -v[14:15]
	v_fma_f64 v[14:15], v[16:17], s[2:3], v[20:21]
	v_fma_f64 v[12:13], v[12:13], s[0:1], v[14:15]
	v_add_f64 v[22:23], v[18:19], v[12:13]
	v_add_f64 v[14:15], v[22:23], -v[18:19]
	v_add_f64 v[24:25], v[12:13], -v[14:15]
	s_cbranch_execz .LBB1_5
	s_branch .LBB1_6
.LBB1_4:
                                        ; implicit-def: $vgpr33
                                        ; implicit-def: $vgpr22_vgpr23
                                        ; implicit-def: $vgpr24_vgpr25
.LBB1_5:
	s_mov_b32 s0, 0x6dc9c883
	s_mov_b32 s1, 0x3fe45f30
	v_mul_f64 v[12:13], |v[0:1]|, s[0:1]
	s_mov_b32 s0, 0x54442d18
	s_mov_b32 s1, 0xbff921fb
	;; [unrolled: 1-line block ×4, first 2 shown]
	v_rndne_f64_e32 v[12:13], v[12:13]
	v_fma_f64 v[14:15], v[12:13], s[0:1], |v[0:1]|
	v_mul_f64 v[16:17], v[12:13], s[2:3]
	s_mov_b32 s0, 0x252049c0
	s_mov_b32 s1, 0xb97b839a
	v_cvt_i32_f64_e32 v33, v[12:13]
	v_add_f64 v[18:19], v[14:15], v[16:17]
	v_add_f64 v[20:21], v[14:15], -v[18:19]
	v_fma_f64 v[14:15], v[12:13], s[2:3], v[14:15]
	s_mov_b32 s3, 0x3c91a626
	v_add_f64 v[20:21], v[20:21], v[16:17]
	v_add_f64 v[18:19], v[18:19], -v[14:15]
	v_fma_f64 v[16:17], v[12:13], s[2:3], v[16:17]
	v_add_f64 v[18:19], v[18:19], v[20:21]
	v_add_f64 v[16:17], v[18:19], -v[16:17]
	v_fma_f64 v[16:17], v[12:13], s[0:1], v[16:17]
	v_add_f64 v[22:23], v[14:15], v[16:17]
	v_add_f64 v[14:15], v[22:23], -v[14:15]
	v_add_f64 v[24:25], v[16:17], -v[14:15]
.LBB1_6:
	s_and_b64 vcc, exec, s[6:7]
	s_cbranch_vccz .LBB1_8
; %bb.7:
	s_mov_b32 s0, 0
	s_mov_b32 s1, 0x7b000000
	s_movk_i32 s2, 0xff80
	v_ldexp_f64 v[12:13], |v[0:1]|, s2
	v_cmp_ge_f64_e64 vcc, |v[0:1]|, s[0:1]
	v_and_b32_e32 v6, 0x7fffffff, v1
	s_mov_b32 s0, 0
	s_mov_b32 s1, 0x7ff00000
	;; [unrolled: 1-line block ×3, first 2 shown]
	v_cndmask_b32_e32 v13, v6, v13, vcc
	v_cndmask_b32_e32 v12, v0, v12, vcc
	v_mul_f64 v[14:15], v[59:60], v[12:13]
	v_mul_f64 v[16:17], v[61:62], v[12:13]
	;; [unrolled: 1-line block ×3, first 2 shown]
	v_fma_f64 v[18:19], v[59:60], v[12:13], -v[14:15]
	v_fma_f64 v[34:35], v[61:62], v[12:13], -v[16:17]
	;; [unrolled: 1-line block ×3, first 2 shown]
	v_add_f64 v[20:21], v[16:17], v[18:19]
	v_add_f64 v[26:27], v[20:21], -v[16:17]
	v_add_f64 v[36:37], v[14:15], v[20:21]
	v_add_f64 v[28:29], v[20:21], -v[26:27]
	v_add_f64 v[18:19], v[18:19], -v[26:27]
	v_add_f64 v[26:27], v[30:31], v[34:35]
	v_add_f64 v[14:15], v[36:37], -v[14:15]
	v_add_f64 v[16:17], v[16:17], -v[28:29]
	v_ldexp_f64 v[28:29], v[36:37], -2
	v_add_f64 v[14:15], v[20:21], -v[14:15]
	v_add_f64 v[16:17], v[18:19], v[16:17]
	v_fract_f64_e32 v[18:19], v[28:29]
	v_cmp_neq_f64_e64 vcc, |v[28:29]|, s[0:1]
	v_add_f64 v[20:21], v[26:27], v[16:17]
	v_ldexp_f64 v[18:19], v[18:19], 2
	v_add_f64 v[28:29], v[14:15], v[20:21]
	v_cndmask_b32_e32 v19, 0, v19, vcc
	v_cndmask_b32_e32 v18, 0, v18, vcc
	v_add_f64 v[38:39], v[20:21], -v[26:27]
	v_add_f64 v[36:37], v[28:29], v[18:19]
	v_add_f64 v[14:15], v[28:29], -v[14:15]
	v_add_f64 v[42:43], v[20:21], -v[38:39]
	;; [unrolled: 1-line block ×3, first 2 shown]
	v_cmp_gt_f64_e32 vcc, 0, v[36:37]
	v_add_f64 v[36:37], v[26:27], -v[30:31]
	v_add_f64 v[14:15], v[20:21], -v[14:15]
	s_and_b64 s[0:1], vcc, exec
	s_cselect_b32 s3, 0x40100000, 0
	v_add_f64 v[18:19], v[18:19], s[2:3]
	v_add_f64 v[40:41], v[26:27], -v[36:37]
	v_add_f64 v[34:35], v[34:35], -v[36:37]
	;; [unrolled: 1-line block ×3, first 2 shown]
	v_add_f64 v[44:45], v[28:29], v[18:19]
	v_add_f64 v[36:37], v[30:31], -v[40:41]
	v_add_f64 v[16:17], v[16:17], v[26:27]
	v_cvt_i32_f64_e32 v6, v[44:45]
	v_add_f64 v[34:35], v[34:35], v[36:37]
	v_cvt_f64_i32_e32 v[38:39], v6
	v_add_f64 v[18:19], v[18:19], -v[38:39]
	v_add_f64 v[16:17], v[34:35], v[16:17]
	v_add_f64 v[26:27], v[28:29], v[18:19]
	v_add_f64 v[12:13], v[12:13], v[16:17]
	v_add_f64 v[16:17], v[26:27], -v[18:19]
	v_cmp_le_f64_e32 vcc, 0.5, v[26:27]
	v_add_f64 v[12:13], v[14:15], v[12:13]
	v_add_f64 v[14:15], v[28:29], -v[16:17]
	s_and_b64 s[0:1], vcc, exec
	s_cselect_b32 s3, 0x3ff00000, 0
	v_addc_co_u32_e64 v30, s[0:1], 0, v6, vcc
	s_mov_b32 s0, 0x54442d18
	s_mov_b32 s1, 0x3ff921fb
	v_add_f64 v[12:13], v[12:13], v[14:15]
	v_add_f64 v[14:15], v[26:27], -s[2:3]
	s_mov_b32 s2, 0x33145c07
	s_mov_b32 s3, 0x3c91a626
	v_add_f64 v[16:17], v[14:15], v[12:13]
	v_mul_f64 v[18:19], v[16:17], s[0:1]
	v_add_f64 v[14:15], v[16:17], -v[14:15]
	v_fma_f64 v[20:21], v[16:17], s[0:1], -v[18:19]
	v_add_f64 v[12:13], v[12:13], -v[14:15]
	v_fma_f64 v[14:15], v[16:17], s[2:3], v[20:21]
	v_fma_f64 v[14:15], v[12:13], s[0:1], v[14:15]
	v_add_f64 v[12:13], v[18:19], v[14:15]
	v_add_f64 v[16:17], v[12:13], -v[18:19]
	v_add_f64 v[14:15], v[14:15], -v[16:17]
	s_cbranch_execz .LBB1_9
	s_branch .LBB1_10
.LBB1_8:
                                        ; implicit-def: $vgpr30
                                        ; implicit-def: $vgpr12_vgpr13
                                        ; implicit-def: $vgpr14_vgpr15
.LBB1_9:
	s_mov_b32 s0, 0x6dc9c883
	s_mov_b32 s1, 0x3fe45f30
	v_mul_f64 v[12:13], |v[0:1]|, s[0:1]
	s_mov_b32 s0, 0x54442d18
	s_mov_b32 s1, 0xbff921fb
	;; [unrolled: 1-line block ×4, first 2 shown]
	v_rndne_f64_e32 v[16:17], v[12:13]
	v_fma_f64 v[12:13], v[16:17], s[0:1], |v[0:1]|
	v_mul_f64 v[14:15], v[16:17], s[2:3]
	s_mov_b32 s0, 0x252049c0
	s_mov_b32 s1, 0xb97b839a
	v_cvt_i32_f64_e32 v30, v[16:17]
	v_fma_f64 v[26:27], v[16:17], s[2:3], v[12:13]
	v_add_f64 v[18:19], v[12:13], v[14:15]
	s_mov_b32 s3, 0x3c91a626
	v_add_f64 v[20:21], v[12:13], -v[18:19]
	v_add_f64 v[18:19], v[18:19], -v[26:27]
	v_add_f64 v[12:13], v[20:21], v[14:15]
	v_fma_f64 v[14:15], v[16:17], s[2:3], v[14:15]
	v_add_f64 v[12:13], v[18:19], v[12:13]
	v_add_f64 v[12:13], v[12:13], -v[14:15]
	v_fma_f64 v[14:15], v[16:17], s[0:1], v[12:13]
	v_add_f64 v[12:13], v[26:27], v[14:15]
	v_add_f64 v[18:19], v[12:13], -v[26:27]
	v_add_f64 v[14:15], v[14:15], -v[18:19]
.LBB1_10:
	s_and_b64 vcc, exec, s[6:7]
	s_cbranch_vccz .LBB1_12
; %bb.11:
	s_mov_b32 s0, 0
	s_mov_b32 s1, 0x7b000000
	v_cmp_ge_f64_e64 vcc, |v[0:1]|, s[0:1]
	s_movk_i32 s0, 0xff80
	v_ldexp_f64 v[16:17], |v[0:1]|, s0
	v_and_b32_e32 v6, 0x7fffffff, v1
	s_mov_b32 s0, 0
	s_mov_b32 s1, 0x7ff00000
	s_mov_b32 s2, 0
	v_cndmask_b32_e32 v17, v6, v17, vcc
	v_cndmask_b32_e32 v16, v0, v16, vcc
	v_mul_f64 v[20:21], v[59:60], v[16:17]
	v_mul_f64 v[18:19], v[61:62], v[16:17]
	v_fma_f64 v[26:27], v[59:60], v[16:17], -v[20:21]
	v_add_f64 v[28:29], v[18:19], v[26:27]
	v_add_f64 v[38:39], v[28:29], -v[18:19]
	v_add_f64 v[31:32], v[20:21], v[28:29]
	v_add_f64 v[26:27], v[26:27], -v[38:39]
	v_add_f64 v[38:39], v[28:29], -v[38:39]
	v_ldexp_f64 v[34:35], v[31:32], -2
	v_add_f64 v[20:21], v[31:32], -v[20:21]
	v_add_f64 v[38:39], v[18:19], -v[38:39]
	v_fma_f64 v[18:19], v[61:62], v[16:17], -v[18:19]
	v_add_f64 v[20:21], v[28:29], -v[20:21]
	v_fract_f64_e32 v[36:37], v[34:35]
	v_cmp_neq_f64_e64 vcc, |v[34:35]|, s[0:1]
	v_add_f64 v[26:27], v[26:27], v[38:39]
	v_mul_f64 v[38:39], v[51:52], v[16:17]
	v_add_f64 v[40:41], v[38:39], v[18:19]
	v_fma_f64 v[16:17], v[51:52], v[16:17], -v[38:39]
	v_add_f64 v[42:43], v[40:41], v[26:27]
	v_add_f64 v[31:32], v[42:43], -v[40:41]
	v_add_f64 v[28:29], v[20:21], v[42:43]
	v_add_f64 v[26:27], v[26:27], -v[31:32]
	v_add_f64 v[31:32], v[42:43], -v[31:32]
	;; [unrolled: 1-line block ×5, first 2 shown]
	v_add_f64 v[26:27], v[26:27], v[31:32]
	v_add_f64 v[31:32], v[40:41], -v[38:39]
	v_add_f64 v[18:19], v[18:19], -v[31:32]
	;; [unrolled: 1-line block ×4, first 2 shown]
	v_add_f64 v[18:19], v[18:19], v[31:32]
	v_add_f64 v[18:19], v[18:19], v[26:27]
	v_add_f64 v[16:17], v[16:17], v[18:19]
	v_ldexp_f64 v[18:19], v[36:37], 2
	v_add_f64 v[16:17], v[20:21], v[16:17]
	v_cndmask_b32_e32 v19, 0, v19, vcc
	v_cndmask_b32_e32 v18, 0, v18, vcc
	v_add_f64 v[20:21], v[28:29], v[18:19]
	v_cmp_gt_f64_e32 vcc, 0, v[20:21]
	s_and_b64 s[0:1], vcc, exec
	s_cselect_b32 s3, 0x40100000, 0
	v_add_f64 v[18:19], v[18:19], s[2:3]
	v_add_f64 v[20:21], v[28:29], v[18:19]
	v_cvt_i32_f64_e32 v6, v[20:21]
	v_cvt_f64_i32_e32 v[20:21], v6
	v_add_f64 v[18:19], v[18:19], -v[20:21]
	v_add_f64 v[20:21], v[28:29], v[18:19]
	v_add_f64 v[18:19], v[20:21], -v[18:19]
	v_cmp_le_f64_e32 vcc, 0.5, v[20:21]
	v_add_f64 v[18:19], v[28:29], -v[18:19]
	s_and_b64 s[0:1], vcc, exec
	s_cselect_b32 s3, 0x3ff00000, 0
	v_addc_co_u32_e64 v34, s[0:1], 0, v6, vcc
	s_mov_b32 s0, 0x54442d18
	s_mov_b32 s1, 0x3ff921fb
	v_add_f64 v[16:17], v[16:17], v[18:19]
	v_add_f64 v[18:19], v[20:21], -s[2:3]
	s_mov_b32 s2, 0x33145c07
	s_mov_b32 s3, 0x3c91a626
	v_add_f64 v[20:21], v[18:19], v[16:17]
	v_add_f64 v[18:19], v[20:21], -v[18:19]
	v_add_f64 v[16:17], v[16:17], -v[18:19]
	v_mul_f64 v[18:19], v[20:21], s[0:1]
	v_fma_f64 v[26:27], v[20:21], s[0:1], -v[18:19]
	v_fma_f64 v[20:21], v[20:21], s[2:3], v[26:27]
	v_fma_f64 v[16:17], v[16:17], s[0:1], v[20:21]
	v_add_f64 v[20:21], v[18:19], v[16:17]
	v_add_f64 v[18:19], v[20:21], -v[18:19]
	v_add_f64 v[28:29], v[16:17], -v[18:19]
	s_cbranch_execz .LBB1_13
	s_branch .LBB1_14
.LBB1_12:
                                        ; implicit-def: $vgpr34
                                        ; implicit-def: $vgpr20_vgpr21
                                        ; implicit-def: $vgpr28_vgpr29
.LBB1_13:
	s_mov_b32 s0, 0x6dc9c883
	s_mov_b32 s1, 0x3fe45f30
	v_mul_f64 v[16:17], |v[0:1]|, s[0:1]
	s_mov_b32 s0, 0x54442d18
	s_mov_b32 s1, 0xbff921fb
	;; [unrolled: 1-line block ×4, first 2 shown]
	v_rndne_f64_e32 v[16:17], v[16:17]
	v_fma_f64 v[18:19], v[16:17], s[0:1], |v[0:1]|
	v_mul_f64 v[20:21], v[16:17], s[2:3]
	s_mov_b32 s0, 0x252049c0
	s_mov_b32 s1, 0xb97b839a
	v_cvt_i32_f64_e32 v34, v[16:17]
	v_add_f64 v[26:27], v[18:19], v[20:21]
	v_add_f64 v[28:29], v[18:19], -v[26:27]
	v_fma_f64 v[18:19], v[16:17], s[2:3], v[18:19]
	s_mov_b32 s3, 0x3c91a626
	v_add_f64 v[28:29], v[28:29], v[20:21]
	v_add_f64 v[26:27], v[26:27], -v[18:19]
	v_fma_f64 v[20:21], v[16:17], s[2:3], v[20:21]
	v_add_f64 v[26:27], v[26:27], v[28:29]
	v_add_f64 v[20:21], v[26:27], -v[20:21]
	v_fma_f64 v[26:27], v[16:17], s[0:1], v[20:21]
	v_add_f64 v[20:21], v[18:19], v[26:27]
	v_add_f64 v[18:19], v[20:21], -v[18:19]
	v_add_f64 v[28:29], v[26:27], -v[18:19]
.LBB1_14:
	s_and_b64 vcc, exec, s[6:7]
	s_cbranch_vccz .LBB1_16
; %bb.15:
	s_mov_b32 s0, 0
	s_mov_b32 s1, 0x7b000000
	s_movk_i32 s2, 0xff80
	v_ldexp_f64 v[16:17], |v[0:1]|, s2
	v_cmp_ge_f64_e64 vcc, |v[0:1]|, s[0:1]
	v_and_b32_e32 v6, 0x7fffffff, v1
	s_mov_b32 s0, 0
	s_mov_b32 s1, 0x7ff00000
	;; [unrolled: 1-line block ×3, first 2 shown]
	v_mov_b32_e32 v8, v51
	v_mov_b32_e32 v9, v52
	v_cndmask_b32_e32 v17, v6, v17, vcc
	v_cndmask_b32_e32 v16, v0, v16, vcc
	v_mul_f64 v[18:19], v[59:60], v[16:17]
	v_mul_f64 v[26:27], v[61:62], v[16:17]
	;; [unrolled: 1-line block ×3, first 2 shown]
	v_fma_f64 v[31:32], v[59:60], v[16:17], -v[18:19]
	v_fma_f64 v[43:44], v[61:62], v[16:17], -v[26:27]
	v_add_f64 v[35:36], v[26:27], v[31:32]
	v_add_f64 v[37:38], v[35:36], -v[26:27]
	v_add_f64 v[45:46], v[18:19], v[35:36]
	v_add_f64 v[39:40], v[35:36], -v[37:38]
	v_add_f64 v[31:32], v[31:32], -v[37:38]
	v_add_f64 v[37:38], v[41:42], v[43:44]
	v_add_f64 v[18:19], v[45:46], -v[18:19]
	v_add_f64 v[26:27], v[26:27], -v[39:40]
	v_ldexp_f64 v[39:40], v[45:46], -2
	v_add_f64 v[18:19], v[35:36], -v[18:19]
	v_add_f64 v[26:27], v[31:32], v[26:27]
	v_fract_f64_e32 v[31:32], v[39:40]
	v_cmp_neq_f64_e64 vcc, |v[39:40]|, s[0:1]
	v_add_f64 v[35:36], v[37:38], v[26:27]
	v_ldexp_f64 v[31:32], v[31:32], 2
	v_add_f64 v[39:40], v[18:19], v[35:36]
	v_cndmask_b32_e32 v32, 0, v32, vcc
	v_cndmask_b32_e32 v31, 0, v31, vcc
	v_add_f64 v[47:48], v[35:36], -v[37:38]
	v_add_f64 v[45:46], v[39:40], v[31:32]
	v_add_f64 v[18:19], v[39:40], -v[18:19]
	v_add_f64 v[51:52], v[35:36], -v[47:48]
	;; [unrolled: 1-line block ×3, first 2 shown]
	v_cmp_gt_f64_e32 vcc, 0, v[45:46]
	v_add_f64 v[45:46], v[37:38], -v[41:42]
	v_add_f64 v[18:19], v[35:36], -v[18:19]
	s_and_b64 s[0:1], vcc, exec
	s_cselect_b32 s3, 0x40100000, 0
	v_add_f64 v[31:32], v[31:32], s[2:3]
	v_add_f64 v[49:50], v[37:38], -v[45:46]
	v_add_f64 v[43:44], v[43:44], -v[45:46]
	;; [unrolled: 1-line block ×3, first 2 shown]
	v_mov_b32_e32 v52, v9
	v_mov_b32_e32 v51, v8
	v_fma_f64 v[16:17], v[51:52], v[16:17], -v[41:42]
	v_add_f64 v[53:54], v[39:40], v[31:32]
	v_add_f64 v[45:46], v[41:42], -v[49:50]
	v_add_f64 v[26:27], v[26:27], v[37:38]
	v_cvt_i32_f64_e32 v6, v[53:54]
	v_add_f64 v[43:44], v[43:44], v[45:46]
	v_cvt_f64_i32_e32 v[47:48], v6
	v_add_f64 v[31:32], v[31:32], -v[47:48]
	v_add_f64 v[26:27], v[43:44], v[26:27]
	v_add_f64 v[37:38], v[39:40], v[31:32]
	;; [unrolled: 1-line block ×3, first 2 shown]
	v_add_f64 v[26:27], v[37:38], -v[31:32]
	v_cmp_le_f64_e32 vcc, 0.5, v[37:38]
	v_add_f64 v[16:17], v[18:19], v[16:17]
	v_add_f64 v[18:19], v[39:40], -v[26:27]
	s_and_b64 s[0:1], vcc, exec
	s_cselect_b32 s3, 0x3ff00000, 0
	v_addc_co_u32_e64 v35, s[0:1], 0, v6, vcc
	s_mov_b32 s0, 0x54442d18
	s_mov_b32 s1, 0x3ff921fb
	v_add_f64 v[16:17], v[16:17], v[18:19]
	v_add_f64 v[18:19], v[37:38], -s[2:3]
	s_mov_b32 s2, 0x33145c07
	s_mov_b32 s3, 0x3c91a626
	v_add_f64 v[26:27], v[18:19], v[16:17]
	v_mul_f64 v[31:32], v[26:27], s[0:1]
	v_add_f64 v[18:19], v[26:27], -v[18:19]
	v_fma_f64 v[36:37], v[26:27], s[0:1], -v[31:32]
	v_add_f64 v[16:17], v[16:17], -v[18:19]
	v_fma_f64 v[18:19], v[26:27], s[2:3], v[36:37]
	v_fma_f64 v[18:19], v[16:17], s[0:1], v[18:19]
	v_add_f64 v[16:17], v[31:32], v[18:19]
	v_add_f64 v[26:27], v[16:17], -v[31:32]
	v_add_f64 v[18:19], v[18:19], -v[26:27]
	buffer_store_dword v7, off, s[96:99], 0 offset:16 ; 4-byte Folded Spill
	s_cbranch_execz .LBB1_17
	s_branch .LBB1_18
.LBB1_16:
                                        ; implicit-def: $vgpr35
                                        ; implicit-def: $vgpr16_vgpr17
                                        ; implicit-def: $vgpr18_vgpr19
	buffer_store_dword v7, off, s[96:99], 0 offset:16 ; 4-byte Folded Spill
.LBB1_17:
	s_mov_b32 s0, 0x6dc9c883
	s_mov_b32 s1, 0x3fe45f30
	v_mul_f64 v[16:17], |v[0:1]|, s[0:1]
	s_mov_b32 s0, 0x54442d18
	s_mov_b32 s1, 0xbff921fb
	;; [unrolled: 1-line block ×4, first 2 shown]
	v_rndne_f64_e32 v[26:27], v[16:17]
	v_fma_f64 v[16:17], v[26:27], s[0:1], |v[0:1]|
	v_mul_f64 v[18:19], v[26:27], s[2:3]
	s_mov_b32 s0, 0x252049c0
	s_mov_b32 s1, 0xb97b839a
	v_fma_f64 v[37:38], v[26:27], s[2:3], v[16:17]
	v_add_f64 v[31:32], v[16:17], v[18:19]
	s_mov_b32 s3, 0x3c91a626
	v_add_f64 v[35:36], v[16:17], -v[31:32]
	v_add_f64 v[31:32], v[31:32], -v[37:38]
	v_add_f64 v[16:17], v[35:36], v[18:19]
	v_fma_f64 v[18:19], v[26:27], s[2:3], v[18:19]
	v_cvt_i32_f64_e32 v35, v[26:27]
	v_add_f64 v[16:17], v[31:32], v[16:17]
	v_add_f64 v[16:17], v[16:17], -v[18:19]
	v_fma_f64 v[18:19], v[26:27], s[0:1], v[16:17]
	v_add_f64 v[16:17], v[37:38], v[18:19]
	v_add_f64 v[31:32], v[16:17], -v[37:38]
	v_add_f64 v[18:19], v[18:19], -v[31:32]
.LBB1_18:
	v_mul_f64 v[36:37], v[20:21], v[20:21]
	s_mov_b32 s2, 0x9037ab78
	s_mov_b32 s3, 0x3e21eeb6
	;; [unrolled: 1-line block ×7, first 2 shown]
	v_mul_f64 v[26:27], v[36:37], -0.5
	s_mov_b32 s27, 0x3efa01a0
	s_mov_b32 s28, 0x16c16967
	s_mov_b32 s29, 0xbf56c16c
	s_mov_b32 s30, 0x55555555
	s_mov_b32 s31, 0x3fa55555
	v_mul_f64 v[40:41], v[36:37], v[36:37]
	s_mov_b32 s20, 0xf9a43bb8
	v_add_f64 v[38:39], v[26:27], 1.0
	s_mov_b32 s21, 0x3de5e0b2
	s_mov_b32 s16, 0x796cde01
	;; [unrolled: 1-line block ×7, first 2 shown]
	v_add_f64 v[31:32], -v[38:39], 1.0
	v_mul_f64 v[44:45], v[28:29], 0.5
	v_and_b32_e32 v7, 1, v34
	s_mov_b32 s18, 0
	v_cmp_eq_u32_e32 vcc, 0, v7
	s_brev_b32 s19, 8
	s_movk_i32 s0, 0x1f8
	v_cmp_class_f64_e64 s[0:1], v[0:1], s0
	v_add_f64 v[26:27], v[31:32], v[26:27]
	v_mov_b32_e32 v32, s3
	v_mov_b32_e32 v31, s2
	v_fma_f64 v[42:43], v[36:37], s[22:23], v[31:32]
	s_mov_b32 s2, 0xb42fdfa7
	s_mov_b32 s3, 0xbe5ae600
	v_lshlrev_b32_e32 v8, 30, v34
	v_and_b32_e32 v8, 0x80000000, v8
	v_fma_f64 v[26:27], v[20:21], -v[28:29], v[26:27]
	v_add_f64 v[4:5], v[4:5], 1.0
	v_add_f64 v[2:3], v[2:3], 1.0
	v_fma_f64 v[42:43], v[36:37], v[42:43], s[24:25]
	v_fma_f64 v[42:43], v[36:37], v[42:43], s[26:27]
	v_fma_f64 v[42:43], v[36:37], v[42:43], s[28:29]
	v_fma_f64 v[42:43], v[36:37], v[42:43], s[30:31]
	v_fma_f64 v[26:27], v[40:41], v[42:43], v[26:27]
	v_mul_f64 v[42:43], v[20:21], -v[36:37]
	v_add_f64 v[38:39], v[38:39], v[26:27]
	v_mov_b32_e32 v27, s3
	v_mov_b32_e32 v26, s2
	v_fma_f64 v[40:41], v[36:37], s[20:21], v[26:27]
	s_mov_b32 s3, 0xbfc55555
	s_mov_b32 s2, s30
	v_fma_f64 v[40:41], v[36:37], v[40:41], s[16:17]
	v_fma_f64 v[40:41], v[36:37], v[40:41], s[14:15]
	v_fma_f64 v[40:41], v[36:37], v[40:41], s[10:11]
	v_fma_f64 v[40:41], v[42:43], v[40:41], v[44:45]
	v_fma_f64 v[28:29], v[36:37], v[40:41], -v[28:29]
	v_mov_b32_e32 v36, 0x7ff80000
	v_fma_f64 v[28:29], v[42:43], s[2:3], v[28:29]
	v_add_f64 v[20:21], v[20:21], -v[28:29]
	v_mov_b32_e32 v28, 0
	v_mov_b32_e32 v29, 0x412e8480
	v_fma_f64 v[28:29], s[12:13], s[12:13], v[28:29]
	v_xor_b32_e32 v6, 0x80000000, v21
	v_cndmask_b32_e32 v7, v20, v38, vcc
	v_cndmask_b32_e32 v6, v6, v39, vcc
	v_cmp_gt_f64_e32 vcc, s[18:19], v[28:29]
	v_xor_b32_e32 v6, v6, v8
	v_cndmask_b32_e64 v21, v36, v6, s[0:1]
	v_and_b32_e32 v6, 1, v33
	v_lshlrev_b32_e32 v8, 30, v33
	v_cndmask_b32_e64 v20, 0, v7, s[0:1]
	v_xor_b32_e32 v8, v8, v1
	v_and_b32_e32 v8, 0x80000000, v8
	s_and_b64 s[34:35], vcc, exec
	s_cselect_b32 s33, 0x100, 0
	v_ldexp_f64 v[28:29], v[28:29], s33
	s_cselect_b32 s33, 0xffffff80, 0
	v_readlane_b32 s34, v63, 0
	v_readlane_b32 s35, v63, 1
	v_rsq_f64_e32 v[37:38], v[28:29]
	v_mul_f64 v[39:40], v[28:29], v[37:38]
	v_mul_f64 v[37:38], v[37:38], 0.5
	v_fma_f64 v[41:42], -v[37:38], v[39:40], 0.5
	v_fma_f64 v[39:40], v[39:40], v[41:42], v[39:40]
	v_fma_f64 v[37:38], v[37:38], v[41:42], v[37:38]
	v_fma_f64 v[43:44], -v[39:40], v[39:40], v[28:29]
	v_fma_f64 v[39:40], v[43:44], v[37:38], v[39:40]
	v_fma_f64 v[41:42], -v[39:40], v[39:40], v[28:29]
	v_fma_f64 v[37:38], v[41:42], v[37:38], v[39:40]
	v_ldexp_f64 v[38:39], v[37:38], s33
	v_mov_b32_e32 v37, 0x260
	v_cmp_class_f64_e32 vcc, v[28:29], v37
	v_cndmask_b32_e32 v29, v39, v29, vcc
	v_cndmask_b32_e32 v28, v38, v28, vcc
	v_mul_f64 v[38:39], v[22:23], v[22:23]
	v_cmp_eq_u32_e32 vcc, 0, v6
	v_mul_f64 v[40:41], v[38:39], -0.5
	v_fma_f64 v[46:47], v[38:39], s[22:23], v[31:32]
	v_add_f64 v[42:43], v[40:41], 1.0
	v_fma_f64 v[46:47], v[38:39], v[46:47], s[24:25]
	v_add_f64 v[44:45], -v[42:43], 1.0
	v_fma_f64 v[46:47], v[38:39], v[46:47], s[26:27]
	v_add_f64 v[40:41], v[44:45], v[40:41]
	v_fma_f64 v[46:47], v[38:39], v[46:47], s[28:29]
	v_mul_f64 v[44:45], v[38:39], v[38:39]
	v_fma_f64 v[40:41], v[22:23], -v[24:25], v[40:41]
	v_fma_f64 v[46:47], v[38:39], v[46:47], s[30:31]
	v_fma_f64 v[40:41], v[44:45], v[46:47], v[40:41]
	v_mul_f64 v[44:45], v[22:23], -v[38:39]
	v_mul_f64 v[46:47], v[24:25], 0.5
	v_add_f64 v[40:41], v[42:43], v[40:41]
	v_fma_f64 v[42:43], v[38:39], s[20:21], v[26:27]
	v_fma_f64 v[42:43], v[38:39], v[42:43], s[16:17]
	;; [unrolled: 1-line block ×5, first 2 shown]
	v_fma_f64 v[24:25], v[38:39], v[42:43], -v[24:25]
	v_fma_f64 v[24:25], v[44:45], s[2:3], v[24:25]
	v_add_f64 v[22:23], v[22:23], -v[24:25]
	v_cndmask_b32_e32 v6, v40, v22, vcc
	v_cndmask_b32_e64 v22, 0, v6, s[0:1]
	v_cvt_i32_f64_e32 v6, s[34:35]
	s_mov_b32 s34, 0
	s_mov_b32 s35, 0x40340000
	v_cndmask_b32_e32 v7, v41, v23, vcc
	v_cvt_f64_i32_e32 v[24:25], v6
	v_xor_b32_e32 v7, v7, v8
	v_cndmask_b32_e64 v23, v36, v7, s[0:1]
	v_and_b32_e32 v6, 1, v30
	v_add_f64 v[24:25], v[24:25], 1.0
	v_div_scale_f64 v[33:34], s[36:37], v[24:25], v[24:25], s[34:35]
	v_rcp_f64_e32 v[38:39], v[33:34]
	v_fma_f64 v[40:41], -v[33:34], v[38:39], 1.0
	v_fma_f64 v[38:39], v[38:39], v[40:41], v[38:39]
	v_fma_f64 v[40:41], -v[33:34], v[38:39], 1.0
	v_fma_f64 v[38:39], v[38:39], v[40:41], v[38:39]
	v_div_scale_f64 v[40:41], vcc, s[34:35], v[24:25], s[34:35]
	v_mul_f64 v[42:43], v[40:41], v[38:39]
	v_fma_f64 v[33:34], -v[33:34], v[42:43], v[40:41]
	s_nop 1
	v_div_fmas_f64 v[33:34], v[33:34], v[38:39], v[42:43]
	v_cmp_eq_u32_e32 vcc, 0, v6
	v_lshlrev_b32_e32 v6, 30, v30
	v_and_b32_e32 v6, 0x80000000, v6
	v_div_fixup_f64 v[24:25], v[33:34], v[24:25], s[34:35]
	s_mov_b32 s34, 0
	s_mov_b32 s35, 0xc0240000
	v_fma_f64 v[7:8], v[24:25], v[4:5], s[34:35]
	v_mul_f64 v[4:5], v[12:13], v[12:13]
	v_mul_f64 v[33:34], v[4:5], -0.5
	v_fma_f64 v[42:43], v[4:5], s[22:23], v[31:32]
	v_add_f64 v[38:39], v[33:34], 1.0
	v_fma_f64 v[42:43], v[4:5], v[42:43], s[24:25]
	v_add_f64 v[40:41], -v[38:39], 1.0
	v_fma_f64 v[42:43], v[4:5], v[42:43], s[26:27]
	v_add_f64 v[33:34], v[40:41], v[33:34]
	v_fma_f64 v[42:43], v[4:5], v[42:43], s[28:29]
	v_mul_f64 v[40:41], v[4:5], v[4:5]
	v_fma_f64 v[33:34], v[12:13], -v[14:15], v[33:34]
	v_fma_f64 v[42:43], v[4:5], v[42:43], s[30:31]
	v_fma_f64 v[33:34], v[40:41], v[42:43], v[33:34]
	v_mul_f64 v[40:41], v[12:13], -v[4:5]
	v_mul_f64 v[42:43], v[14:15], 0.5
	v_add_f64 v[33:34], v[38:39], v[33:34]
	v_fma_f64 v[38:39], v[4:5], s[20:21], v[26:27]
	v_fma_f64 v[38:39], v[4:5], v[38:39], s[16:17]
	;; [unrolled: 1-line block ×5, first 2 shown]
	v_fma_f64 v[4:5], v[4:5], v[38:39], -v[14:15]
	v_fma_f64 v[4:5], v[40:41], s[2:3], v[4:5]
	v_add_f64 v[4:5], v[12:13], -v[4:5]
	v_mul_f64 v[12:13], v[16:17], v[16:17]
	v_xor_b32_e32 v5, 0x80000000, v5
	v_cndmask_b32_e32 v5, v5, v34, vcc
	v_cndmask_b32_e32 v4, v4, v33, vcc
	v_xor_b32_e32 v5, v5, v6
	v_cndmask_b32_e64 v4, 0, v4, s[0:1]
	v_cndmask_b32_e64 v5, v36, v5, s[0:1]
	v_mul_f64 v[4:5], v[7:8], v[4:5]
	buffer_store_dword v7, off, s[96:99], 0 offset:64 ; 4-byte Folded Spill
	s_nop 0
	buffer_store_dword v8, off, s[96:99], 0 offset:68 ; 4-byte Folded Spill
	v_and_b32_e32 v6, 1, v35
	v_cmp_eq_u32_e32 vcc, 0, v6
	v_lshlrev_b32_e32 v6, 30, v35
	v_xor_b32_e32 v6, v6, v1
	v_and_b32_e32 v6, 0x80000000, v6
	v_fma_f64 v[4:5], v[28:29], v[22:23], -v[4:5]
	v_fma_f64 v[28:29], v[24:25], v[2:3], s[34:35]
	v_mul_f64 v[2:3], v[12:13], -0.5
	v_fma_f64 v[24:25], v[12:13], s[22:23], v[31:32]
	v_add_f64 v[14:15], v[2:3], 1.0
	v_fma_f64 v[24:25], v[12:13], v[24:25], s[24:25]
	v_add_f64 v[22:23], -v[14:15], 1.0
	v_fma_f64 v[24:25], v[12:13], v[24:25], s[26:27]
	v_add_f64 v[2:3], v[22:23], v[2:3]
	v_fma_f64 v[24:25], v[12:13], v[24:25], s[28:29]
	v_mul_f64 v[22:23], v[12:13], v[12:13]
	v_fma_f64 v[2:3], v[16:17], -v[18:19], v[2:3]
	v_fma_f64 v[24:25], v[12:13], v[24:25], s[30:31]
	v_fma_f64 v[2:3], v[22:23], v[24:25], v[2:3]
	v_mul_f64 v[22:23], v[16:17], -v[12:13]
	v_mul_f64 v[24:25], v[18:19], 0.5
	v_add_f64 v[2:3], v[14:15], v[2:3]
	v_fma_f64 v[14:15], v[12:13], s[20:21], v[26:27]
	v_fma_f64 v[14:15], v[12:13], v[14:15], s[16:17]
	;; [unrolled: 1-line block ×4, first 2 shown]
	s_mov_b32 s11, 0x3fedd9ad
	s_mov_b32 s10, 0x336a0500
	v_fma_f64 v[14:15], v[22:23], v[14:15], v[24:25]
	v_fma_f64 v[12:13], v[12:13], v[14:15], -v[18:19]
	v_fma_f64 v[12:13], v[22:23], s[2:3], v[12:13]
	s_mov_b32 s2, 0
	s_mov_b32 s3, 0x408f4000
	v_add_f64 v[12:13], v[16:17], -v[12:13]
	v_cndmask_b32_e32 v3, v3, v13, vcc
	v_cndmask_b32_e32 v2, v2, v12, vcc
	v_xor_b32_e32 v3, v3, v6
	v_cndmask_b32_e64 v2, 0, v2, s[0:1]
	v_cndmask_b32_e64 v3, v36, v3, s[0:1]
	v_mul_f64 v[2:3], v[7:8], v[2:3]
	v_add_f64 v[6:7], s[12:13], s[12:13]
	buffer_store_dword v6, off, s[96:99], 0 offset:536 ; 4-byte Folded Spill
	s_nop 0
	buffer_store_dword v7, off, s[96:99], 0 offset:540 ; 4-byte Folded Spill
	v_mul_f64 v[12:13], v[4:5], v[4:5]
	v_fma_f64 v[2:3], v[20:21], s[2:3], v[2:3]
	v_fma_f64 v[12:13], v[28:29], v[28:29], v[12:13]
	;; [unrolled: 1-line block ×3, first 2 shown]
	v_fma_f64 v[12:13], -s[12:13], s[12:13], v[12:13]
	v_mul_f64 v[14:15], v[12:13], v[12:13]
	v_mul_f64 v[16:17], v[6:7], v[2:3]
	v_mov_b32_e32 v6, 0x100
	v_fma_f64 v[14:15], v[16:17], v[16:17], v[14:15]
	v_cmp_gt_f64_e32 vcc, s[18:19], v[14:15]
	v_cndmask_b32_e32 v7, 0, v6, vcc
	v_ldexp_f64 v[14:15], v[14:15], v7
	v_mov_b32_e32 v7, 0xffffff80
	v_cndmask_b32_e32 v8, 0, v7, vcc
	v_rsq_f64_e32 v[16:17], v[14:15]
	v_cmp_class_f64_e32 vcc, v[14:15], v37
	v_mul_f64 v[18:19], v[14:15], v[16:17]
	v_mul_f64 v[16:17], v[16:17], 0.5
	v_fma_f64 v[20:21], -v[16:17], v[18:19], 0.5
	v_fma_f64 v[18:19], v[18:19], v[20:21], v[18:19]
	v_fma_f64 v[16:17], v[16:17], v[20:21], v[16:17]
	v_fma_f64 v[22:23], -v[18:19], v[18:19], v[14:15]
	v_fma_f64 v[18:19], v[22:23], v[16:17], v[18:19]
	v_fma_f64 v[20:21], -v[18:19], v[18:19], v[14:15]
	v_fma_f64 v[16:17], v[20:21], v[16:17], v[18:19]
	v_ldexp_f64 v[16:17], v[16:17], v8
	v_cndmask_b32_e32 v15, v17, v15, vcc
	v_cndmask_b32_e32 v14, v16, v14, vcc
	v_add_f64 v[12:13], v[12:13], v[14:15]
	v_mul_f64 v[12:13], v[12:13], 0.5
	v_cmp_gt_f64_e32 vcc, s[18:19], v[12:13]
	v_cndmask_b32_e32 v6, 0, v6, vcc
	v_ldexp_f64 v[12:13], v[12:13], v6
	v_cndmask_b32_e32 v6, 0, v7, vcc
	v_rsq_f64_e32 v[14:15], v[12:13]
	v_cmp_class_f64_e32 vcc, v[12:13], v37
	v_mul_f64 v[16:17], v[12:13], v[14:15]
	v_mul_f64 v[14:15], v[14:15], 0.5
	v_fma_f64 v[18:19], -v[14:15], v[16:17], 0.5
	v_fma_f64 v[16:17], v[16:17], v[18:19], v[16:17]
	v_fma_f64 v[14:15], v[14:15], v[18:19], v[14:15]
	v_fma_f64 v[20:21], -v[16:17], v[16:17], v[12:13]
	v_fma_f64 v[16:17], v[20:21], v[14:15], v[16:17]
	v_fma_f64 v[18:19], -v[16:17], v[16:17], v[12:13]
	v_fma_f64 v[14:15], v[18:19], v[14:15], v[16:17]
	v_ldexp_f64 v[14:15], v[14:15], v6
	v_cndmask_b32_e32 v7, v15, v13, vcc
	v_cndmask_b32_e32 v6, v14, v12, vcc
	v_div_scale_f64 v[12:13], s[2:3], v[6:7], v[6:7], v[2:3]
	s_mov_b32 s2, 0x9fea6a70
	s_mov_b32 s3, 0x3fa05985
	v_rcp_f64_e32 v[14:15], v[12:13]
	v_fma_f64 v[16:17], -v[12:13], v[14:15], 1.0
	v_fma_f64 v[14:15], v[14:15], v[16:17], v[14:15]
	v_fma_f64 v[16:17], -v[12:13], v[14:15], 1.0
	v_fma_f64 v[14:15], v[14:15], v[16:17], v[14:15]
	v_div_scale_f64 v[16:17], vcc, v[2:3], v[6:7], v[2:3]
	buffer_store_dword v6, off, s[96:99], 0 offset:32 ; 4-byte Folded Spill
	s_nop 0
	buffer_store_dword v7, off, s[96:99], 0 offset:36 ; 4-byte Folded Spill
	v_mul_f64 v[18:19], v[16:17], v[14:15]
	v_fma_f64 v[12:13], -v[12:13], v[18:19], v[16:17]
	v_mov_b32_e32 v16, 0x78a05eaf
	v_mov_b32_e32 v17, 0xbf90a5a3
	v_div_fmas_f64 v[12:13], v[12:13], v[14:15], v[18:19]
	v_div_fixup_f64 v[2:3], v[12:13], v[6:7], v[2:3]
	v_cmp_ge_f64_e64 vcc, |v[2:3]|, 0.5
	v_fma_f64 v[12:13], |v[2:3]|, -0.5, 0.5
	v_mul_f64 v[14:15], v[2:3], v[2:3]
	v_cndmask_b32_e32 v15, v15, v13, vcc
	v_cndmask_b32_e32 v14, v14, v12, vcc
	v_fma_f64 v[16:17], v[14:15], s[2:3], v[16:17]
	s_mov_b32 s2, 0x37024d6a
	s_mov_b32 s3, 0x3f940521
	v_fma_f64 v[16:17], v[14:15], v[16:17], s[2:3]
	s_mov_b32 s2, 0x98a70509
	s_mov_b32 s3, 0x3f7ab3a0
	;; [unrolled: 3-line block ×10, first 2 shown]
	v_fma_f64 v[16:17], v[14:15], v[16:17], s[2:3]
	v_mul_f64 v[16:17], v[14:15], v[16:17]
	v_mov_b32_e32 v14, 0xeeb562d6
	v_mov_b32_e32 v15, 0x3ffaf154
	v_fma_f64 v[18:19], v[2:3], v[16:17], v[2:3]
	v_fma_f64 v[6:7], s[10:11], v[14:15], -v[18:19]
	s_and_saveexec_b64 s[2:3], vcc
	s_cbranch_execz .LBB1_20
; %bb.19:
	v_rsq_f64_e32 v[18:19], v[12:13]
	v_cmp_eq_f64_e32 vcc, 0, v[12:13]
	s_mov_b32 s11, 0x3ffdd9ad
	v_mov_b32_e32 v6, 0x54442d18
	v_mov_b32_e32 v9, 0x400921fb
	v_mul_f64 v[20:21], v[12:13], v[18:19]
	v_mul_f64 v[18:19], v[18:19], 0.5
	v_fma_f64 v[22:23], -v[18:19], v[20:21], 0.5
	v_fma_f64 v[20:21], v[20:21], v[22:23], v[20:21]
	v_fma_f64 v[18:19], v[18:19], v[22:23], v[18:19]
	v_fma_f64 v[22:23], -v[20:21], v[20:21], v[12:13]
	v_fma_f64 v[18:19], v[22:23], v[18:19], v[20:21]
	v_cndmask_b32_e32 v19, v19, v13, vcc
	v_cndmask_b32_e32 v18, v18, v12, vcc
	v_add_f64 v[20:21], v[18:19], v[18:19]
	v_mul_f64 v[22:23], v[18:19], v[18:19]
	v_rcp_f64_e32 v[24:25], v[20:21]
	v_add_f64 v[26:27], v[12:13], -v[22:23]
	v_fma_f64 v[33:34], v[18:19], v[18:19], -v[22:23]
	v_add_f64 v[12:13], v[12:13], -v[26:27]
	v_fma_f64 v[31:32], -v[20:21], v[24:25], 1.0
	v_add_f64 v[12:13], v[12:13], -v[22:23]
	v_fma_f64 v[22:23], v[31:32], v[24:25], v[24:25]
	v_add_f64 v[12:13], v[12:13], -v[33:34]
	v_fma_f64 v[24:25], -v[20:21], v[22:23], 1.0
	v_add_f64 v[12:13], v[26:27], v[12:13]
	v_fma_f64 v[22:23], v[24:25], v[22:23], v[22:23]
	v_mul_f64 v[24:25], v[12:13], v[22:23]
	v_fma_f64 v[12:13], -v[20:21], v[24:25], v[12:13]
	v_fma_f64 v[12:13], v[12:13], v[22:23], v[24:25]
	v_cndmask_b32_e64 v13, v13, 0, vcc
	v_cndmask_b32_e64 v12, v12, 0, vcc
	v_add_f64 v[20:21], v[18:19], v[12:13]
	v_cmp_gt_f64_e32 vcc, 0, v[2:3]
	v_add_f64 v[18:19], v[20:21], -v[18:19]
	v_add_f64 v[12:13], v[12:13], -v[18:19]
	v_fma_f64 v[18:19], v[20:21], v[16:17], v[20:21]
	v_fma_f64 v[12:13], v[20:21], v[16:17], v[12:13]
	v_mul_f64 v[16:17], v[18:19], -2.0
	v_add_f64 v[12:13], v[20:21], v[12:13]
	v_fma_f64 v[14:15], s[10:11], v[14:15], v[16:17]
	v_add_f64 v[12:13], v[12:13], v[12:13]
	v_cndmask_b32_e32 v7, v13, v15, vcc
	v_cndmask_b32_e32 v8, v12, v14, vcc
	v_cmp_neq_f64_e32 vcc, -1.0, v[2:3]
	v_cndmask_b32_e32 v6, v6, v8, vcc
	v_cndmask_b32_e32 v7, v9, v7, vcc
	v_cmp_neq_f64_e32 vcc, 1.0, v[2:3]
	v_cndmask_b32_e32 v7, 0, v7, vcc
	v_cndmask_b32_e32 v6, 0, v6, vcc
.LBB1_20:
	s_or_b64 exec, exec, s[2:3]
	v_trig_preop_f64 v[31:32], |v[6:7]|, 0
	v_trig_preop_f64 v[33:34], |v[6:7]|, 1
	;; [unrolled: 1-line block ×3, first 2 shown]
	buffer_store_dword v6, off, s[96:99], 0 offset:24 ; 4-byte Folded Spill
	s_nop 0
	buffer_store_dword v7, off, s[96:99], 0 offset:28 ; 4-byte Folded Spill
	s_mov_b32 s2, 0
	s_mov_b32 s3, 0x41d00000
                                        ; implicit-def: $vgpr2
                                        ; kill: killed $vgpr2
                                        ; implicit-def: $vgpr2_vgpr3
                                        ; kill: killed $vgpr2_vgpr3
                                        ; implicit-def: $vgpr2_vgpr3
                                        ; kill: killed $vgpr2_vgpr3
	v_cmp_nlt_f64_e64 s[10:11], |v[6:7]|, s[2:3]
	s_mov_b64 s[2:3], exec
	s_and_b64 s[16:17], s[2:3], s[10:11]
	v_mov_b32_e32 v9, v33
	s_xor_b64 s[14:15], s[16:17], s[2:3]
	v_mov_b32_e32 v10, v34
	s_mov_b64 exec, s[16:17]
	s_cbranch_execz .LBB1_22
; %bb.21:
	buffer_load_dword v7, off, s[96:99], 0 offset:24 ; 4-byte Folded Reload
	buffer_load_dword v8, off, s[96:99], 0 offset:28 ; 4-byte Folded Reload
	s_mov_b32 s2, 0
	s_mov_b32 s3, 0x7b000000
	s_movk_i32 s16, 0xff80
	v_mov_b32_e32 v37, 0
	s_waitcnt vmcnt(0)
	v_ldexp_f64 v[2:3], |v[7:8]|, s16
	v_cmp_ge_f64_e64 vcc, |v[7:8]|, s[2:3]
	v_and_b32_e32 v6, 0x7fffffff, v8
	s_mov_b32 s2, 0
	s_mov_b32 s3, 0x7ff00000
	s_mov_b32 s16, 0x33145c07
	s_mov_b32 s17, 0x3c91a626
	v_cndmask_b32_e32 v3, v6, v3, vcc
	v_cndmask_b32_e32 v2, v7, v2, vcc
	v_mul_f64 v[12:13], v[31:32], v[2:3]
	v_mul_f64 v[14:15], v[33:34], v[2:3]
	;; [unrolled: 1-line block ×3, first 2 shown]
	v_mov_b32_e32 v6, 0x40100000
	v_mov_b32_e32 v7, 0x3ff00000
	v_fma_f64 v[16:17], v[31:32], v[2:3], -v[12:13]
	v_fma_f64 v[33:34], v[9:10], v[2:3], -v[14:15]
	;; [unrolled: 1-line block ×3, first 2 shown]
	v_add_f64 v[18:19], v[14:15], v[16:17]
	v_add_f64 v[22:23], v[18:19], -v[14:15]
	v_add_f64 v[35:36], v[12:13], v[18:19]
	v_add_f64 v[24:25], v[18:19], -v[22:23]
	v_add_f64 v[16:17], v[16:17], -v[22:23]
	v_add_f64 v[22:23], v[26:27], v[33:34]
	v_add_f64 v[12:13], v[35:36], -v[12:13]
	v_add_f64 v[14:15], v[14:15], -v[24:25]
	v_ldexp_f64 v[24:25], v[35:36], -2
	v_add_f64 v[39:40], v[22:23], -v[26:27]
	v_add_f64 v[12:13], v[18:19], -v[12:13]
	v_add_f64 v[14:15], v[16:17], v[14:15]
	v_fract_f64_e32 v[16:17], v[24:25]
	v_cmp_neq_f64_e64 vcc, |v[24:25]|, s[2:3]
	v_add_f64 v[33:34], v[33:34], -v[39:40]
	v_add_f64 v[18:19], v[22:23], v[14:15]
	v_ldexp_f64 v[16:17], v[16:17], 2
	v_add_f64 v[24:25], v[12:13], v[18:19]
	v_cndmask_b32_e32 v17, 0, v17, vcc
	v_cndmask_b32_e32 v16, 0, v16, vcc
	v_add_f64 v[41:42], v[18:19], -v[22:23]
	v_add_f64 v[35:36], v[24:25], v[16:17]
	v_add_f64 v[12:13], v[24:25], -v[12:13]
	v_add_f64 v[43:44], v[18:19], -v[41:42]
	;; [unrolled: 1-line block ×3, first 2 shown]
	v_cmp_gt_f64_e32 vcc, 0, v[35:36]
	v_add_f64 v[35:36], v[22:23], -v[39:40]
	v_add_f64 v[12:13], v[18:19], -v[12:13]
	v_add_f64 v[22:23], v[22:23], -v[43:44]
	v_cndmask_b32_e32 v38, 0, v6, vcc
	v_add_f64 v[16:17], v[16:17], v[37:38]
	v_add_f64 v[35:36], v[26:27], -v[35:36]
	v_add_f64 v[14:15], v[14:15], v[22:23]
	v_add_f64 v[45:46], v[24:25], v[16:17]
	;; [unrolled: 1-line block ×3, first 2 shown]
	v_cvt_i32_f64_e32 v6, v[45:46]
	v_add_f64 v[14:15], v[33:34], v[14:15]
	v_mov_b32_e32 v34, v10
	v_mov_b32_e32 v33, v9
	v_cvt_f64_i32_e32 v[38:39], v6
	v_add_f64 v[16:17], v[16:17], -v[38:39]
	v_add_f64 v[2:3], v[2:3], v[14:15]
	v_add_f64 v[22:23], v[24:25], v[16:17]
	v_add_f64 v[2:3], v[12:13], v[2:3]
	v_add_f64 v[14:15], v[22:23], -v[16:17]
	v_cmp_le_f64_e32 vcc, 0.5, v[22:23]
	v_add_f64 v[12:13], v[24:25], -v[14:15]
	v_cndmask_b32_e32 v38, 0, v7, vcc
	v_addc_co_u32_e64 v6, s[2:3], 0, v6, vcc
	s_mov_b32 s2, 0x54442d18
	s_mov_b32 s3, 0x3ff921fb
	buffer_store_dword v6, off, s[96:99], 0 offset:72 ; 4-byte Folded Spill
	v_add_f64 v[2:3], v[2:3], v[12:13]
	v_add_f64 v[12:13], v[22:23], -v[37:38]
	v_add_f64 v[14:15], v[12:13], v[2:3]
	v_mul_f64 v[18:19], v[14:15], s[2:3]
	v_add_f64 v[12:13], v[14:15], -v[12:13]
	v_fma_f64 v[16:17], v[14:15], s[2:3], -v[18:19]
	v_add_f64 v[2:3], v[2:3], -v[12:13]
	v_fma_f64 v[12:13], v[14:15], s[16:17], v[16:17]
	v_fma_f64 v[2:3], v[2:3], s[2:3], v[12:13]
	v_add_f64 v[6:7], v[18:19], v[2:3]
	buffer_store_dword v6, off, s[96:99], 0 offset:80 ; 4-byte Folded Spill
	s_nop 0
	buffer_store_dword v7, off, s[96:99], 0 offset:84 ; 4-byte Folded Spill
	v_add_f64 v[12:13], v[6:7], -v[18:19]
	v_add_f64 v[2:3], v[2:3], -v[12:13]
	buffer_store_dword v2, off, s[96:99], 0 offset:88 ; 4-byte Folded Spill
	s_nop 0
	buffer_store_dword v3, off, s[96:99], 0 offset:92 ; 4-byte Folded Spill
	s_andn2_saveexec_b64 s[2:3], s[14:15]
	s_cbranch_execz .LBB1_24
	s_branch .LBB1_23
.LBB1_22:
	s_andn2_saveexec_b64 s[2:3], s[14:15]
	s_cbranch_execz .LBB1_24
.LBB1_23:
	buffer_load_dword v6, off, s[96:99], 0 offset:24 ; 4-byte Folded Reload
	buffer_load_dword v7, off, s[96:99], 0 offset:28 ; 4-byte Folded Reload
	s_mov_b32 s14, 0x6dc9c883
	s_mov_b32 s15, 0x3fe45f30
	;; [unrolled: 1-line block ×4, first 2 shown]
	s_waitcnt vmcnt(0)
	v_mul_f64 v[2:3], |v[6:7]|, s[14:15]
	s_mov_b32 s14, 0x54442d18
	s_mov_b32 s15, 0xbff921fb
	v_rndne_f64_e32 v[2:3], v[2:3]
	v_fma_f64 v[12:13], v[2:3], s[14:15], |v[6:7]|
	v_mul_f64 v[14:15], v[2:3], s[16:17]
	s_mov_b32 s14, 0x252049c0
	s_mov_b32 s15, 0xb97b839a
	v_add_f64 v[16:17], v[12:13], v[14:15]
	v_add_f64 v[18:19], v[12:13], -v[16:17]
	v_fma_f64 v[12:13], v[2:3], s[16:17], v[12:13]
	s_mov_b32 s17, 0x3c91a626
	v_add_f64 v[18:19], v[18:19], v[14:15]
	v_add_f64 v[16:17], v[16:17], -v[12:13]
	v_fma_f64 v[14:15], v[2:3], s[16:17], v[14:15]
	v_add_f64 v[16:17], v[16:17], v[18:19]
	v_add_f64 v[14:15], v[16:17], -v[14:15]
	v_fma_f64 v[14:15], v[2:3], s[14:15], v[14:15]
	v_cvt_i32_f64_e32 v2, v[2:3]
	v_add_f64 v[6:7], v[12:13], v[14:15]
	buffer_store_dword v6, off, s[96:99], 0 offset:80 ; 4-byte Folded Spill
	s_nop 0
	buffer_store_dword v7, off, s[96:99], 0 offset:84 ; 4-byte Folded Spill
	v_add_f64 v[12:13], v[6:7], -v[12:13]
	v_add_f64 v[6:7], v[14:15], -v[12:13]
	buffer_store_dword v6, off, s[96:99], 0 offset:88 ; 4-byte Folded Spill
	s_nop 0
	buffer_store_dword v7, off, s[96:99], 0 offset:92 ; 4-byte Folded Spill
	buffer_store_dword v2, off, s[96:99], 0 offset:72 ; 4-byte Folded Spill
.LBB1_24:
	s_or_b64 exec, exec, s[2:3]
                                        ; implicit-def: $vgpr2
                                        ; kill: killed $vgpr2
                                        ; implicit-def: $vgpr2_vgpr3
                                        ; kill: killed $vgpr2_vgpr3
                                        ; implicit-def: $vgpr2_vgpr3
                                        ; kill: killed $vgpr2_vgpr3
	s_and_saveexec_b64 s[2:3], s[10:11]
	s_xor_b64 s[14:15], exec, s[2:3]
	s_cbranch_execz .LBB1_28
; %bb.25:
	buffer_load_dword v7, off, s[96:99], 0 offset:24 ; 4-byte Folded Reload
	buffer_load_dword v8, off, s[96:99], 0 offset:28 ; 4-byte Folded Reload
	s_mov_b32 s2, 0
	s_mov_b32 s3, 0x7b000000
	s_movk_i32 s16, 0xff80
	v_mov_b32_e32 v39, 0
	s_waitcnt vmcnt(0)
	v_ldexp_f64 v[2:3], |v[7:8]|, s16
	v_cmp_ge_f64_e64 vcc, |v[7:8]|, s[2:3]
	v_and_b32_e32 v6, 0x7fffffff, v8
	s_mov_b32 s2, 0
	s_mov_b32 s3, 0x7ff00000
	;; [unrolled: 1-line block ×4, first 2 shown]
	v_cndmask_b32_e32 v3, v6, v3, vcc
	v_cndmask_b32_e32 v2, v7, v2, vcc
	v_mul_f64 v[12:13], v[31:32], v[2:3]
	v_mul_f64 v[14:15], v[33:34], v[2:3]
	;; [unrolled: 1-line block ×3, first 2 shown]
	v_mov_b32_e32 v6, 0x40100000
	v_mov_b32_e32 v7, 0x3ff00000
	v_fma_f64 v[18:19], v[31:32], v[2:3], -v[12:13]
	v_fma_f64 v[35:36], v[9:10], v[2:3], -v[14:15]
	;; [unrolled: 1-line block ×3, first 2 shown]
	v_add_f64 v[22:23], v[14:15], v[18:19]
	v_add_f64 v[24:25], v[22:23], -v[14:15]
	v_add_f64 v[37:38], v[12:13], v[22:23]
	v_add_f64 v[26:27], v[22:23], -v[24:25]
	v_add_f64 v[18:19], v[18:19], -v[24:25]
	v_add_f64 v[24:25], v[33:34], v[35:36]
	v_add_f64 v[12:13], v[37:38], -v[12:13]
	v_add_f64 v[14:15], v[14:15], -v[26:27]
	v_ldexp_f64 v[26:27], v[37:38], -2
	v_add_f64 v[41:42], v[24:25], -v[33:34]
	v_add_f64 v[12:13], v[22:23], -v[12:13]
	v_add_f64 v[14:15], v[18:19], v[14:15]
	v_fract_f64_e32 v[18:19], v[26:27]
	v_cmp_neq_f64_e64 vcc, |v[26:27]|, s[2:3]
	v_add_f64 v[35:36], v[35:36], -v[41:42]
	v_add_f64 v[22:23], v[24:25], v[14:15]
	v_ldexp_f64 v[18:19], v[18:19], 2
	v_add_f64 v[26:27], v[12:13], v[22:23]
	v_cndmask_b32_e32 v19, 0, v19, vcc
	v_cndmask_b32_e32 v18, 0, v18, vcc
	v_add_f64 v[43:44], v[22:23], -v[24:25]
	v_add_f64 v[37:38], v[26:27], v[18:19]
	v_add_f64 v[12:13], v[26:27], -v[12:13]
	v_add_f64 v[45:46], v[22:23], -v[43:44]
	;; [unrolled: 1-line block ×3, first 2 shown]
	v_cmp_gt_f64_e32 vcc, 0, v[37:38]
	v_add_f64 v[37:38], v[24:25], -v[41:42]
	v_add_f64 v[12:13], v[22:23], -v[12:13]
	;; [unrolled: 1-line block ×3, first 2 shown]
	v_cndmask_b32_e32 v40, 0, v6, vcc
	v_add_f64 v[18:19], v[18:19], v[39:40]
	v_add_f64 v[37:38], v[33:34], -v[37:38]
	v_add_f64 v[14:15], v[14:15], v[24:25]
	v_mov_b32_e32 v34, v10
	v_mov_b32_e32 v33, v9
	v_add_f64 v[47:48], v[26:27], v[18:19]
	v_add_f64 v[35:36], v[35:36], v[37:38]
	v_cvt_i32_f64_e32 v6, v[47:48]
	v_add_f64 v[14:15], v[35:36], v[14:15]
	v_cvt_f64_i32_e32 v[40:41], v6
	v_add_f64 v[18:19], v[18:19], -v[40:41]
	v_add_f64 v[2:3], v[2:3], v[14:15]
	v_add_f64 v[24:25], v[26:27], v[18:19]
	;; [unrolled: 1-line block ×3, first 2 shown]
	v_add_f64 v[14:15], v[24:25], -v[18:19]
	v_cmp_le_f64_e32 vcc, 0.5, v[24:25]
	v_add_f64 v[12:13], v[26:27], -v[14:15]
	v_cndmask_b32_e32 v40, 0, v7, vcc
	v_addc_co_u32_e64 v6, s[2:3], 0, v6, vcc
	s_mov_b32 s2, 0x54442d18
	s_mov_b32 s3, 0x3ff921fb
	buffer_store_dword v6, off, s[96:99], 0 offset:96 ; 4-byte Folded Spill
	v_add_f64 v[2:3], v[2:3], v[12:13]
	v_add_f64 v[12:13], v[24:25], -v[39:40]
	v_add_f64 v[14:15], v[12:13], v[2:3]
	v_mul_f64 v[18:19], v[14:15], s[2:3]
	v_add_f64 v[12:13], v[14:15], -v[12:13]
	v_fma_f64 v[22:23], v[14:15], s[2:3], -v[18:19]
	v_add_f64 v[2:3], v[2:3], -v[12:13]
	v_fma_f64 v[12:13], v[14:15], s[16:17], v[22:23]
	v_fma_f64 v[2:3], v[2:3], s[2:3], v[12:13]
	v_add_f64 v[6:7], v[18:19], v[2:3]
	buffer_store_dword v6, off, s[96:99], 0 offset:104 ; 4-byte Folded Spill
	s_nop 0
	buffer_store_dword v7, off, s[96:99], 0 offset:108 ; 4-byte Folded Spill
	v_add_f64 v[12:13], v[6:7], -v[18:19]
	v_add_f64 v[2:3], v[2:3], -v[12:13]
	buffer_store_dword v2, off, s[96:99], 0 offset:112 ; 4-byte Folded Spill
	s_nop 0
	buffer_store_dword v3, off, s[96:99], 0 offset:116 ; 4-byte Folded Spill
	s_andn2_saveexec_b64 s[2:3], s[14:15]
	s_cbranch_execnz .LBB1_29
.LBB1_26:
	s_or_b64 exec, exec, s[2:3]
	s_and_b64 vcc, exec, s[6:7]
	s_cbranch_vccz .LBB1_30
.LBB1_27:
	s_mov_b32 s2, 0
	s_mov_b32 s3, 0x7b000000
	v_cmp_ge_f64_e64 vcc, |v[0:1]|, s[2:3]
	s_movk_i32 s2, 0xff80
	v_ldexp_f64 v[2:3], |v[0:1]|, s2
	v_and_b32_e32 v6, 0x7fffffff, v1
	s_mov_b32 s2, 0
	s_mov_b32 s3, 0x7ff00000
	;; [unrolled: 1-line block ×3, first 2 shown]
	v_cndmask_b32_e32 v13, v6, v3, vcc
	v_cndmask_b32_e32 v12, v0, v2, vcc
	v_mul_f64 v[18:19], v[59:60], v[12:13]
	v_mul_f64 v[2:3], v[61:62], v[12:13]
	;; [unrolled: 1-line block ×3, first 2 shown]
	v_fma_f64 v[24:25], v[59:60], v[12:13], -v[18:19]
	v_add_f64 v[26:27], v[2:3], v[24:25]
	v_add_f64 v[37:38], v[26:27], -v[2:3]
	v_add_f64 v[33:34], v[18:19], v[26:27]
	v_add_f64 v[24:25], v[24:25], -v[37:38]
	v_add_f64 v[37:38], v[26:27], -v[37:38]
	v_ldexp_f64 v[14:15], v[33:34], -2
	v_add_f64 v[37:38], v[2:3], -v[37:38]
	v_fract_f64_e32 v[35:36], v[14:15]
	v_cmp_neq_f64_e64 vcc, |v[14:15]|, s[2:3]
	v_add_f64 v[24:25], v[24:25], v[37:38]
	v_fma_f64 v[37:38], v[61:62], v[12:13], -v[2:3]
	v_add_f64 v[2:3], v[33:34], -v[18:19]
	v_fma_f64 v[12:13], v[51:52], v[12:13], -v[39:40]
	v_add_f64 v[41:42], v[39:40], v[37:38]
	v_add_f64 v[18:19], v[26:27], -v[2:3]
	v_add_f64 v[43:44], v[41:42], v[24:25]
	v_add_f64 v[26:27], v[43:44], -v[41:42]
	;; [unrolled: 2-line block ×3, first 2 shown]
	v_add_f64 v[26:27], v[43:44], -v[26:27]
	v_add_f64 v[18:19], v[2:3], -v[18:19]
	v_add_f64 v[26:27], v[41:42], -v[26:27]
	v_add_f64 v[18:19], v[43:44], -v[18:19]
	v_add_f64 v[24:25], v[24:25], v[26:27]
	v_add_f64 v[26:27], v[41:42], -v[39:40]
	v_add_f64 v[33:34], v[37:38], -v[26:27]
	;; [unrolled: 1-line block ×4, first 2 shown]
	v_add_f64 v[26:27], v[33:34], v[26:27]
	v_mov_b32_e32 v34, v10
	v_mov_b32_e32 v33, v9
	v_add_f64 v[24:25], v[26:27], v[24:25]
	v_add_f64 v[12:13], v[12:13], v[24:25]
	;; [unrolled: 1-line block ×3, first 2 shown]
	v_ldexp_f64 v[18:19], v[35:36], 2
	v_cndmask_b32_e32 v15, 0, v19, vcc
	v_cndmask_b32_e32 v14, 0, v18, vcc
	v_add_f64 v[18:19], v[2:3], v[14:15]
	v_cmp_gt_f64_e32 vcc, 0, v[18:19]
	s_and_b64 s[2:3], vcc, exec
	s_cselect_b32 s15, 0x40100000, 0
	v_add_f64 v[14:15], v[14:15], s[14:15]
	v_add_f64 v[18:19], v[2:3], v[14:15]
	v_cvt_i32_f64_e32 v6, v[18:19]
	v_cvt_f64_i32_e32 v[18:19], v6
	v_add_f64 v[14:15], v[14:15], -v[18:19]
	v_add_f64 v[18:19], v[2:3], v[14:15]
	v_add_f64 v[14:15], v[18:19], -v[14:15]
	v_cmp_le_f64_e32 vcc, 0.5, v[18:19]
	v_add_f64 v[2:3], v[2:3], -v[14:15]
	s_and_b64 s[2:3], vcc, exec
	s_cselect_b32 s15, 0x3ff00000, 0
	v_addc_co_u32_e64 v6, s[2:3], 0, v6, vcc
	s_mov_b32 s2, 0x54442d18
	s_mov_b32 s3, 0x3ff921fb
	buffer_store_dword v6, off, s[96:99], 0 offset:120 ; 4-byte Folded Spill
	v_add_f64 v[2:3], v[12:13], v[2:3]
	v_add_f64 v[12:13], v[18:19], -s[14:15]
	s_mov_b32 s14, 0x33145c07
	s_mov_b32 s15, 0x3c91a626
	v_add_f64 v[14:15], v[12:13], v[2:3]
	v_add_f64 v[12:13], v[14:15], -v[12:13]
	v_add_f64 v[2:3], v[2:3], -v[12:13]
	v_mul_f64 v[12:13], v[14:15], s[2:3]
	v_fma_f64 v[18:19], v[14:15], s[2:3], -v[12:13]
	v_fma_f64 v[14:15], v[14:15], s[14:15], v[18:19]
	v_fma_f64 v[2:3], v[2:3], s[2:3], v[14:15]
	v_add_f64 v[6:7], v[12:13], v[2:3]
	buffer_store_dword v6, off, s[96:99], 0 offset:128 ; 4-byte Folded Spill
	s_nop 0
	buffer_store_dword v7, off, s[96:99], 0 offset:132 ; 4-byte Folded Spill
	v_add_f64 v[12:13], v[6:7], -v[12:13]
	v_add_f64 v[2:3], v[2:3], -v[12:13]
	buffer_store_dword v2, off, s[96:99], 0 offset:136 ; 4-byte Folded Spill
	s_nop 0
	buffer_store_dword v3, off, s[96:99], 0 offset:140 ; 4-byte Folded Spill
	s_cbranch_execz .LBB1_31
	s_branch .LBB1_32
.LBB1_28:
	s_andn2_saveexec_b64 s[2:3], s[14:15]
	s_cbranch_execz .LBB1_26
.LBB1_29:
	buffer_load_dword v6, off, s[96:99], 0 offset:24 ; 4-byte Folded Reload
	buffer_load_dword v7, off, s[96:99], 0 offset:28 ; 4-byte Folded Reload
	s_mov_b32 s14, 0x6dc9c883
	s_mov_b32 s15, 0x3fe45f30
	;; [unrolled: 1-line block ×4, first 2 shown]
	s_waitcnt vmcnt(0)
	v_mul_f64 v[2:3], |v[6:7]|, s[14:15]
	s_mov_b32 s14, 0x54442d18
	s_mov_b32 s15, 0xbff921fb
	v_rndne_f64_e32 v[2:3], v[2:3]
	v_fma_f64 v[12:13], v[2:3], s[14:15], |v[6:7]|
	v_mul_f64 v[14:15], v[2:3], s[16:17]
	s_mov_b32 s14, 0x252049c0
	s_mov_b32 s15, 0xb97b839a
	v_add_f64 v[18:19], v[12:13], v[14:15]
	v_add_f64 v[22:23], v[12:13], -v[18:19]
	v_fma_f64 v[12:13], v[2:3], s[16:17], v[12:13]
	s_mov_b32 s17, 0x3c91a626
	v_add_f64 v[22:23], v[22:23], v[14:15]
	v_add_f64 v[18:19], v[18:19], -v[12:13]
	v_fma_f64 v[14:15], v[2:3], s[16:17], v[14:15]
	v_add_f64 v[18:19], v[18:19], v[22:23]
	v_add_f64 v[14:15], v[18:19], -v[14:15]
	v_fma_f64 v[14:15], v[2:3], s[14:15], v[14:15]
	v_cvt_i32_f64_e32 v2, v[2:3]
	v_add_f64 v[6:7], v[12:13], v[14:15]
	buffer_store_dword v6, off, s[96:99], 0 offset:104 ; 4-byte Folded Spill
	s_nop 0
	buffer_store_dword v7, off, s[96:99], 0 offset:108 ; 4-byte Folded Spill
	v_add_f64 v[12:13], v[6:7], -v[12:13]
	v_add_f64 v[6:7], v[14:15], -v[12:13]
	buffer_store_dword v6, off, s[96:99], 0 offset:112 ; 4-byte Folded Spill
	s_nop 0
	buffer_store_dword v7, off, s[96:99], 0 offset:116 ; 4-byte Folded Spill
	buffer_store_dword v2, off, s[96:99], 0 offset:96 ; 4-byte Folded Spill
	s_or_b64 exec, exec, s[2:3]
	s_and_b64 vcc, exec, s[6:7]
	s_cbranch_vccnz .LBB1_27
.LBB1_30:
                                        ; implicit-def: $vgpr2
                                        ; kill: killed $vgpr2
                                        ; implicit-def: $vgpr2_vgpr3
                                        ; kill: killed $vgpr2_vgpr3
                                        ; implicit-def: $vgpr2_vgpr3
                                        ; kill: killed $vgpr2_vgpr3
.LBB1_31:
	s_mov_b32 s2, 0x6dc9c883
	s_mov_b32 s3, 0x3fe45f30
	v_mul_f64 v[2:3], |v[0:1]|, s[2:3]
	s_mov_b32 s2, 0x54442d18
	s_mov_b32 s3, 0xbff921fb
	;; [unrolled: 1-line block ×4, first 2 shown]
	v_rndne_f64_e32 v[2:3], v[2:3]
	v_fma_f64 v[12:13], v[2:3], s[2:3], |v[0:1]|
	v_mul_f64 v[14:15], v[2:3], s[14:15]
	s_mov_b32 s2, 0x252049c0
	s_mov_b32 s3, 0xb97b839a
	v_add_f64 v[18:19], v[12:13], v[14:15]
	v_add_f64 v[24:25], v[12:13], -v[18:19]
	v_fma_f64 v[12:13], v[2:3], s[14:15], v[12:13]
	s_mov_b32 s15, 0x3c91a626
	v_add_f64 v[24:25], v[24:25], v[14:15]
	v_add_f64 v[18:19], v[18:19], -v[12:13]
	v_fma_f64 v[14:15], v[2:3], s[14:15], v[14:15]
	v_add_f64 v[18:19], v[18:19], v[24:25]
	v_add_f64 v[14:15], v[18:19], -v[14:15]
	v_fma_f64 v[14:15], v[2:3], s[2:3], v[14:15]
	v_cvt_i32_f64_e32 v2, v[2:3]
	v_add_f64 v[6:7], v[12:13], v[14:15]
	buffer_store_dword v6, off, s[96:99], 0 offset:128 ; 4-byte Folded Spill
	s_nop 0
	buffer_store_dword v7, off, s[96:99], 0 offset:132 ; 4-byte Folded Spill
	v_add_f64 v[12:13], v[6:7], -v[12:13]
	v_add_f64 v[6:7], v[14:15], -v[12:13]
	buffer_store_dword v6, off, s[96:99], 0 offset:136 ; 4-byte Folded Spill
	s_nop 0
	buffer_store_dword v7, off, s[96:99], 0 offset:140 ; 4-byte Folded Spill
	buffer_store_dword v2, off, s[96:99], 0 offset:120 ; 4-byte Folded Spill
.LBB1_32:
	v_max_f64 v[2:3], |v[28:29]|, |v[28:29]|
	v_max_f64 v[12:13], |v[4:5]|, |v[4:5]|
	s_mov_b32 s16, 0x54442d18
	s_mov_b32 s17, 0x3ff921fb
	s_movk_i32 s18, 0x204
	v_cmp_class_f64_e64 s[14:15], v[28:29], s18
	v_cmp_class_f64_e64 s[18:19], v[4:5], s18
	v_mov_b32_e32 v6, 0x54442d18
	v_mov_b32_e32 v7, 0x7f3321d2
	v_max_f64 v[14:15], v[12:13], v[2:3]
	v_min_f64 v[2:3], v[12:13], v[2:3]
	v_mov_b32_e32 v8, 0x3fe921fb
	v_mov_b32_e32 v9, 0x4002d97c
	v_ashrrev_i32_e32 v10, 31, v5
	s_brev_b32 s20, -2
	v_mov_b32_e32 v11, 0x7ff80000
                                        ; implicit-def: $vgpr45_vgpr46
	v_div_scale_f64 v[12:13], s[2:3], v[14:15], v[14:15], v[2:3]
	s_mov_b32 s2, 0xb5e68a13
	s_mov_b32 s3, 0x3eeba404
	v_rcp_f64_e32 v[18:19], v[12:13]
	v_fma_f64 v[24:25], -v[12:13], v[18:19], 1.0
	v_fma_f64 v[18:19], v[18:19], v[24:25], v[18:19]
	v_div_scale_f64 v[24:25], vcc, v[2:3], v[14:15], v[2:3]
	v_fma_f64 v[26:27], -v[12:13], v[18:19], 1.0
	v_fma_f64 v[18:19], v[18:19], v[26:27], v[18:19]
	v_mul_f64 v[26:27], v[24:25], v[18:19]
	v_fma_f64 v[12:13], -v[12:13], v[26:27], v[24:25]
	v_div_fmas_f64 v[12:13], v[12:13], v[18:19], v[26:27]
	v_cmp_lt_f64_e64 vcc, |v[4:5]|, |v[28:29]|
	v_div_fixup_f64 v[2:3], v[12:13], v[14:15], v[2:3]
	v_mov_b32_e32 v14, 0xbd3237f4
	v_mov_b32_e32 v15, 0xbf23e260
	v_mul_f64 v[12:13], v[2:3], v[2:3]
	v_fma_f64 v[14:15], v[12:13], s[2:3], v[14:15]
	s_mov_b32 s2, 0x69efb384
	s_mov_b32 s3, 0x3f4b2bb0
	v_fma_f64 v[14:15], v[12:13], v[14:15], s[2:3]
	s_mov_b32 s2, 0xaf56de9b
	s_mov_b32 s3, 0xbf67952d
	;; [unrolled: 3-line block ×19, first 2 shown]
	v_mul_f64 v[12:13], v[12:13], v[14:15]
	v_fma_f64 v[2:3], v[2:3], v[12:13], v[2:3]
	v_add_f64 v[12:13], -v[2:3], s[16:17]
	v_cndmask_b32_e32 v3, v3, v13, vcc
	v_cndmask_b32_e32 v2, v2, v12, vcc
	v_add_f64 v[12:13], -v[2:3], s[2:3]
	v_cmp_eq_f64_e64 s[2:3], 0, v[28:29]
	v_cmp_gt_i32_e32 vcc, 0, v5
	v_cndmask_b32_e32 v6, v6, v7, vcc
	v_and_b32_e32 v7, 0x400921fb, v10
	v_cndmask_b32_e32 v8, v8, v9, vcc
	v_and_b32_e32 v9, 0x54442d18, v10
	v_bfi_b32 v8, s20, v8, v29
	v_cndmask_b32_e32 v3, v3, v13, vcc
	v_cndmask_b32_e32 v2, v2, v12, vcc
	v_cndmask_b32_e64 v3, v3, v7, s[2:3]
	v_cndmask_b32_e64 v2, v2, v9, s[2:3]
	s_and_b64 vcc, s[14:15], s[18:19]
	v_cndmask_b32_e32 v2, v2, v6, vcc
	v_cndmask_b32_e32 v3, v3, v8, vcc
	v_cmp_o_f64_e32 vcc, v[4:5], v[28:29]
	s_mov_b32 s2, 0
	s_mov_b32 s3, 0x41d00000
	v_cndmask_b32_e32 v3, v11, v3, vcc
	v_cndmask_b32_e32 v2, 0, v2, vcc
	v_trig_preop_f64 v[12:13], |v[2:3]|, 0
	v_trig_preop_f64 v[10:11], |v[2:3]|, 1
	;; [unrolled: 1-line block ×3, first 2 shown]
	buffer_store_dword v2, off, s[96:99], 0 offset:480 ; 4-byte Folded Spill
	s_nop 0
	buffer_store_dword v3, off, s[96:99], 0 offset:484 ; 4-byte Folded Spill
	v_cmp_nlt_f64_e64 s[14:15], |v[2:3]|, s[2:3]
                                        ; implicit-def: $vgpr2
                                        ; kill: killed $vgpr2
                                        ; implicit-def: $vgpr2_vgpr3
                                        ; kill: killed $vgpr2_vgpr3
	s_and_saveexec_b64 s[2:3], s[14:15]
	s_xor_b64 s[18:19], exec, s[2:3]
	s_cbranch_execz .LBB1_34
; %bb.33:
	buffer_load_dword v6, off, s[96:99], 0 offset:480 ; 4-byte Folded Reload
	buffer_load_dword v7, off, s[96:99], 0 offset:484 ; 4-byte Folded Reload
	s_mov_b32 s2, 0
	s_mov_b32 s3, 0x7b000000
	s_waitcnt vmcnt(0)
	v_cmp_ge_f64_e64 vcc, |v[6:7]|, s[2:3]
	s_movk_i32 s2, 0xff80
	v_ldexp_f64 v[2:3], |v[6:7]|, s2
	v_and_b32_e32 v4, 0x7fffffff, v7
	s_mov_b32 s2, 0
	s_mov_b32 s3, 0x7ff00000
	v_cndmask_b32_e32 v5, v4, v3, vcc
	v_cndmask_b32_e32 v4, v6, v2, vcc
	v_mul_f64 v[24:25], v[12:13], v[4:5]
	v_mul_f64 v[2:3], v[10:11], v[4:5]
	;; [unrolled: 1-line block ×3, first 2 shown]
	v_mov_b32_e32 v6, 0x40100000
	v_fma_f64 v[26:27], v[12:13], v[4:5], -v[24:25]
	v_add_f64 v[35:36], v[2:3], v[26:27]
	v_add_f64 v[41:42], v[35:36], -v[2:3]
	v_add_f64 v[37:38], v[24:25], v[35:36]
	v_add_f64 v[26:27], v[26:27], -v[41:42]
	v_add_f64 v[41:42], v[35:36], -v[41:42]
	v_ldexp_f64 v[18:19], v[37:38], -2
	v_add_f64 v[41:42], v[2:3], -v[41:42]
	v_fract_f64_e32 v[39:40], v[18:19]
	v_cmp_neq_f64_e64 vcc, |v[18:19]|, s[2:3]
	v_add_f64 v[26:27], v[26:27], v[41:42]
	v_fma_f64 v[41:42], v[10:11], v[4:5], -v[2:3]
	v_add_f64 v[2:3], v[37:38], -v[24:25]
	v_fma_f64 v[4:5], v[8:9], v[4:5], -v[43:44]
	v_add_f64 v[45:46], v[43:44], v[41:42]
	v_add_f64 v[24:25], v[35:36], -v[2:3]
	v_add_f64 v[47:48], v[45:46], v[26:27]
	v_add_f64 v[35:36], v[47:48], -v[45:46]
	;; [unrolled: 2-line block ×3, first 2 shown]
	v_add_f64 v[35:36], v[47:48], -v[35:36]
	v_add_f64 v[24:25], v[2:3], -v[24:25]
	;; [unrolled: 1-line block ×4, first 2 shown]
	v_add_f64 v[26:27], v[26:27], v[35:36]
	v_add_f64 v[35:36], v[45:46], -v[43:44]
	v_add_f64 v[37:38], v[41:42], -v[35:36]
	;; [unrolled: 1-line block ×4, first 2 shown]
	v_add_f64 v[35:36], v[37:38], v[35:36]
	v_add_f64 v[26:27], v[35:36], v[26:27]
	;; [unrolled: 1-line block ×4, first 2 shown]
	v_ldexp_f64 v[24:25], v[39:40], 2
	v_cndmask_b32_e32 v19, 0, v25, vcc
	v_cndmask_b32_e32 v18, 0, v24, vcc
	v_add_f64 v[24:25], v[2:3], v[18:19]
	v_cmp_gt_f64_e32 vcc, 0, v[24:25]
	v_mov_b32_e32 v24, 0
	v_cndmask_b32_e32 v25, 0, v6, vcc
	v_add_f64 v[18:19], v[18:19], v[24:25]
	v_add_f64 v[25:26], v[2:3], v[18:19]
	v_cvt_i32_f64_e32 v6, v[25:26]
	v_cvt_f64_i32_e32 v[25:26], v6
	v_add_f64 v[18:19], v[18:19], -v[25:26]
	v_add_f64 v[26:27], v[2:3], v[18:19]
	v_add_f64 v[18:19], v[26:27], -v[18:19]
	v_cmp_le_f64_e32 vcc, 0.5, v[26:27]
	v_add_f64 v[2:3], v[2:3], -v[18:19]
	v_add_f64 v[2:3], v[4:5], v[2:3]
	v_addc_co_u32_e64 v4, s[2:3], 0, v6, vcc
	buffer_store_dword v4, off, s[96:99], 0 offset:176 ; 4-byte Folded Spill
	v_mov_b32_e32 v4, 0x3ff00000
	v_cndmask_b32_e32 v25, 0, v4, vcc
	v_add_f64 v[4:5], v[26:27], -v[24:25]
	s_mov_b32 s2, 0x33145c07
	s_mov_b32 s3, 0x3c91a626
	v_add_f64 v[18:19], v[4:5], v[2:3]
	v_add_f64 v[4:5], v[18:19], -v[4:5]
	v_add_f64 v[2:3], v[2:3], -v[4:5]
	v_mul_f64 v[4:5], v[18:19], s[16:17]
	v_fma_f64 v[24:25], v[18:19], s[16:17], -v[4:5]
	v_fma_f64 v[18:19], v[18:19], s[2:3], v[24:25]
	v_fma_f64 v[2:3], v[2:3], s[16:17], v[18:19]
	v_add_f64 v[45:46], v[4:5], v[2:3]
	v_add_f64 v[4:5], v[45:46], -v[4:5]
	v_add_f64 v[2:3], v[2:3], -v[4:5]
	buffer_store_dword v2, off, s[96:99], 0 offset:192 ; 4-byte Folded Spill
	s_nop 0
	buffer_store_dword v3, off, s[96:99], 0 offset:196 ; 4-byte Folded Spill
.LBB1_34:
	s_andn2_saveexec_b64 s[2:3], s[18:19]
	s_cbranch_execz .LBB1_36
; %bb.35:
	buffer_load_dword v4, off, s[96:99], 0 offset:480 ; 4-byte Folded Reload
	buffer_load_dword v5, off, s[96:99], 0 offset:484 ; 4-byte Folded Reload
	s_mov_b32 s16, 0x6dc9c883
	s_mov_b32 s17, 0x3fe45f30
	;; [unrolled: 1-line block ×4, first 2 shown]
	s_waitcnt vmcnt(0)
	v_mul_f64 v[2:3], |v[4:5]|, s[16:17]
	s_mov_b32 s16, 0x54442d18
	s_mov_b32 s17, 0xbff921fb
	v_rndne_f64_e32 v[2:3], v[2:3]
	v_fma_f64 v[4:5], v[2:3], s[16:17], |v[4:5]|
	v_mul_f64 v[18:19], v[2:3], s[18:19]
	s_mov_b32 s16, 0x252049c0
	s_mov_b32 s17, 0xb97b839a
	v_add_f64 v[24:25], v[4:5], v[18:19]
	v_add_f64 v[26:27], v[4:5], -v[24:25]
	v_fma_f64 v[4:5], v[2:3], s[18:19], v[4:5]
	s_mov_b32 s19, 0x3c91a626
	v_add_f64 v[26:27], v[26:27], v[18:19]
	v_add_f64 v[24:25], v[24:25], -v[4:5]
	v_fma_f64 v[18:19], v[2:3], s[18:19], v[18:19]
	v_add_f64 v[24:25], v[24:25], v[26:27]
	v_add_f64 v[18:19], v[24:25], -v[18:19]
	v_fma_f64 v[18:19], v[2:3], s[16:17], v[18:19]
	v_cvt_i32_f64_e32 v2, v[2:3]
	v_add_f64 v[45:46], v[4:5], v[18:19]
	v_add_f64 v[4:5], v[45:46], -v[4:5]
	v_add_f64 v[4:5], v[18:19], -v[4:5]
	buffer_store_dword v4, off, s[96:99], 0 offset:192 ; 4-byte Folded Spill
	s_nop 0
	buffer_store_dword v5, off, s[96:99], 0 offset:196 ; 4-byte Folded Spill
	buffer_store_dword v2, off, s[96:99], 0 offset:176 ; 4-byte Folded Spill
.LBB1_36:
	s_or_b64 exec, exec, s[2:3]
	s_and_b64 vcc, exec, s[6:7]
	buffer_store_dword v28, off, s[96:99], 0 ; 4-byte Folded Spill
	s_nop 0
	buffer_store_dword v29, off, s[96:99], 0 offset:4 ; 4-byte Folded Spill
	s_cbranch_vccz .LBB1_38
; %bb.37:
	s_mov_b32 s2, 0
	s_mov_b32 s3, 0x7b000000
	v_cmp_ge_f64_e64 vcc, |v[0:1]|, s[2:3]
	s_movk_i32 s2, 0xff80
	v_ldexp_f64 v[2:3], |v[0:1]|, s2
	v_and_b32_e32 v4, 0x7fffffff, v1
	s_mov_b32 s2, 0
	s_mov_b32 s3, 0x7ff00000
	;; [unrolled: 1-line block ×3, first 2 shown]
	v_cndmask_b32_e32 v5, v4, v3, vcc
	v_cndmask_b32_e32 v4, v0, v2, vcc
	v_mul_f64 v[24:25], v[59:60], v[4:5]
	v_mul_f64 v[2:3], v[61:62], v[4:5]
	;; [unrolled: 1-line block ×3, first 2 shown]
	v_fma_f64 v[26:27], v[59:60], v[4:5], -v[24:25]
	v_add_f64 v[35:36], v[2:3], v[26:27]
	v_add_f64 v[41:42], v[35:36], -v[2:3]
	v_add_f64 v[37:38], v[24:25], v[35:36]
	v_add_f64 v[26:27], v[26:27], -v[41:42]
	v_add_f64 v[41:42], v[35:36], -v[41:42]
	v_ldexp_f64 v[18:19], v[37:38], -2
	v_add_f64 v[41:42], v[2:3], -v[41:42]
	v_fract_f64_e32 v[39:40], v[18:19]
	v_cmp_neq_f64_e64 vcc, |v[18:19]|, s[2:3]
	v_add_f64 v[26:27], v[26:27], v[41:42]
	v_fma_f64 v[41:42], v[61:62], v[4:5], -v[2:3]
	v_add_f64 v[2:3], v[37:38], -v[24:25]
	v_fma_f64 v[4:5], v[51:52], v[4:5], -v[43:44]
	v_add_f64 v[49:50], v[43:44], v[41:42]
	v_add_f64 v[24:25], v[35:36], -v[2:3]
	v_add_f64 v[53:54], v[49:50], v[26:27]
	v_add_f64 v[35:36], v[53:54], -v[49:50]
	;; [unrolled: 2-line block ×3, first 2 shown]
	v_add_f64 v[35:36], v[53:54], -v[35:36]
	v_add_f64 v[24:25], v[2:3], -v[24:25]
	;; [unrolled: 1-line block ×4, first 2 shown]
	v_add_f64 v[26:27], v[26:27], v[35:36]
	v_add_f64 v[35:36], v[49:50], -v[43:44]
	v_add_f64 v[37:38], v[41:42], -v[35:36]
	;; [unrolled: 1-line block ×4, first 2 shown]
	v_add_f64 v[35:36], v[37:38], v[35:36]
	v_add_f64 v[26:27], v[35:36], v[26:27]
	;; [unrolled: 1-line block ×4, first 2 shown]
	v_ldexp_f64 v[24:25], v[39:40], 2
	v_cndmask_b32_e32 v19, 0, v25, vcc
	v_cndmask_b32_e32 v18, 0, v24, vcc
	v_add_f64 v[24:25], v[2:3], v[18:19]
	v_cmp_gt_f64_e32 vcc, 0, v[24:25]
	s_and_b64 s[2:3], vcc, exec
	s_cselect_b32 s17, 0x40100000, 0
	v_add_f64 v[18:19], v[18:19], s[16:17]
	v_add_f64 v[24:25], v[2:3], v[18:19]
	v_cvt_i32_f64_e32 v6, v[24:25]
	v_cvt_f64_i32_e32 v[24:25], v6
	v_add_f64 v[18:19], v[18:19], -v[24:25]
	v_add_f64 v[24:25], v[2:3], v[18:19]
	v_add_f64 v[18:19], v[24:25], -v[18:19]
	v_cmp_le_f64_e32 vcc, 0.5, v[24:25]
	v_add_f64 v[2:3], v[2:3], -v[18:19]
	s_and_b64 s[2:3], vcc, exec
	s_cselect_b32 s17, 0x3ff00000, 0
	v_add_f64 v[2:3], v[4:5], v[2:3]
	v_addc_co_u32_e64 v4, s[2:3], 0, v6, vcc
	buffer_store_dword v4, off, s[96:99], 0 offset:144 ; 4-byte Folded Spill
	v_add_f64 v[4:5], v[24:25], -s[16:17]
	s_mov_b32 s2, 0x54442d18
	s_mov_b32 s3, 0x3ff921fb
	;; [unrolled: 1-line block ×4, first 2 shown]
	v_add_f64 v[18:19], v[4:5], v[2:3]
	v_add_f64 v[4:5], v[18:19], -v[4:5]
	v_add_f64 v[2:3], v[2:3], -v[4:5]
	v_mul_f64 v[4:5], v[18:19], s[2:3]
	v_fma_f64 v[24:25], v[18:19], s[2:3], -v[4:5]
	v_fma_f64 v[18:19], v[18:19], s[16:17], v[24:25]
	v_fma_f64 v[2:3], v[2:3], s[2:3], v[18:19]
	v_add_f64 v[37:38], v[4:5], v[2:3]
	v_add_f64 v[4:5], v[37:38], -v[4:5]
	v_add_f64 v[2:3], v[2:3], -v[4:5]
	buffer_store_dword v2, off, s[96:99], 0 offset:152 ; 4-byte Folded Spill
	s_nop 0
	buffer_store_dword v3, off, s[96:99], 0 offset:156 ; 4-byte Folded Spill
	s_cbranch_execz .LBB1_39
	s_branch .LBB1_40
.LBB1_38:
                                        ; implicit-def: $vgpr2
                                        ; kill: killed $vgpr2
                                        ; implicit-def: $vgpr37_vgpr38
                                        ; implicit-def: $vgpr2_vgpr3
                                        ; kill: killed $vgpr2_vgpr3
.LBB1_39:
	s_mov_b32 s2, 0x6dc9c883
	s_mov_b32 s3, 0x3fe45f30
	v_mul_f64 v[2:3], |v[0:1]|, s[2:3]
	s_mov_b32 s2, 0x54442d18
	s_mov_b32 s3, 0xbff921fb
	;; [unrolled: 1-line block ×4, first 2 shown]
	v_rndne_f64_e32 v[2:3], v[2:3]
	v_fma_f64 v[4:5], v[2:3], s[2:3], |v[0:1]|
	v_mul_f64 v[18:19], v[2:3], s[16:17]
	s_mov_b32 s2, 0x252049c0
	s_mov_b32 s3, 0xb97b839a
	v_add_f64 v[24:25], v[4:5], v[18:19]
	v_add_f64 v[26:27], v[4:5], -v[24:25]
	v_fma_f64 v[4:5], v[2:3], s[16:17], v[4:5]
	s_mov_b32 s17, 0x3c91a626
	v_add_f64 v[26:27], v[26:27], v[18:19]
	v_add_f64 v[24:25], v[24:25], -v[4:5]
	v_fma_f64 v[18:19], v[2:3], s[16:17], v[18:19]
	v_add_f64 v[24:25], v[24:25], v[26:27]
	v_add_f64 v[18:19], v[24:25], -v[18:19]
	v_fma_f64 v[18:19], v[2:3], s[2:3], v[18:19]
	v_cvt_i32_f64_e32 v2, v[2:3]
	v_add_f64 v[37:38], v[4:5], v[18:19]
	v_add_f64 v[4:5], v[37:38], -v[4:5]
	v_add_f64 v[4:5], v[18:19], -v[4:5]
	buffer_store_dword v4, off, s[96:99], 0 offset:152 ; 4-byte Folded Spill
	s_nop 0
	buffer_store_dword v5, off, s[96:99], 0 offset:156 ; 4-byte Folded Spill
	buffer_store_dword v2, off, s[96:99], 0 offset:144 ; 4-byte Folded Spill
.LBB1_40:
                                        ; implicit-def: $vgpr2
                                        ; kill: killed $vgpr2
                                        ; implicit-def: $vgpr41_vgpr42
                                        ; implicit-def: $vgpr2_vgpr3
                                        ; kill: killed $vgpr2_vgpr3
	s_and_saveexec_b64 s[2:3], s[10:11]
	s_xor_b64 s[16:17], exec, s[2:3]
	s_cbranch_execz .LBB1_42
; %bb.41:
	buffer_load_dword v6, off, s[96:99], 0 offset:24 ; 4-byte Folded Reload
	buffer_load_dword v7, off, s[96:99], 0 offset:28 ; 4-byte Folded Reload
	s_mov_b32 s2, 0
	s_mov_b32 s3, 0x7b000000
	;; [unrolled: 1-line block ×4, first 2 shown]
	s_waitcnt vmcnt(0)
	v_cmp_ge_f64_e64 vcc, |v[6:7]|, s[2:3]
	s_movk_i32 s2, 0xff80
	v_ldexp_f64 v[2:3], |v[6:7]|, s2
	v_and_b32_e32 v4, 0x7fffffff, v7
	s_mov_b32 s2, 0
	s_mov_b32 s3, 0x7ff00000
	v_cndmask_b32_e32 v5, v4, v3, vcc
	v_cndmask_b32_e32 v4, v6, v2, vcc
	v_mul_f64 v[24:25], v[31:32], v[4:5]
	v_mul_f64 v[2:3], v[33:34], v[4:5]
	;; [unrolled: 1-line block ×3, first 2 shown]
	v_mov_b32_e32 v6, 0x40100000
	v_fma_f64 v[26:27], v[31:32], v[4:5], -v[24:25]
	v_add_f64 v[35:36], v[2:3], v[26:27]
	v_add_f64 v[49:50], v[35:36], -v[2:3]
	v_add_f64 v[41:42], v[24:25], v[35:36]
	v_add_f64 v[26:27], v[26:27], -v[49:50]
	v_add_f64 v[49:50], v[35:36], -v[49:50]
	v_ldexp_f64 v[18:19], v[41:42], -2
	v_add_f64 v[49:50], v[2:3], -v[49:50]
	v_fract_f64_e32 v[43:44], v[18:19]
	v_cmp_neq_f64_e64 vcc, |v[18:19]|, s[2:3]
	v_add_f64 v[26:27], v[26:27], v[49:50]
	v_fma_f64 v[49:50], v[33:34], v[4:5], -v[2:3]
	v_add_f64 v[2:3], v[41:42], -v[24:25]
	v_fma_f64 v[4:5], v[20:21], v[4:5], -v[53:54]
	v_add_f64 v[55:56], v[53:54], v[49:50]
	v_add_f64 v[24:25], v[35:36], -v[2:3]
	v_add_f64 v[57:58], v[55:56], v[26:27]
	v_add_f64 v[35:36], v[57:58], -v[55:56]
	;; [unrolled: 2-line block ×3, first 2 shown]
	v_add_f64 v[35:36], v[57:58], -v[35:36]
	v_add_f64 v[24:25], v[2:3], -v[24:25]
	v_add_f64 v[35:36], v[55:56], -v[35:36]
	v_add_f64 v[24:25], v[57:58], -v[24:25]
	v_add_f64 v[26:27], v[26:27], v[35:36]
	v_add_f64 v[35:36], v[55:56], -v[53:54]
	v_add_f64 v[41:42], v[49:50], -v[35:36]
	;; [unrolled: 1-line block ×4, first 2 shown]
	v_add_f64 v[35:36], v[41:42], v[35:36]
	v_add_f64 v[26:27], v[35:36], v[26:27]
	;; [unrolled: 1-line block ×4, first 2 shown]
	v_ldexp_f64 v[24:25], v[43:44], 2
	v_cndmask_b32_e32 v19, 0, v25, vcc
	v_cndmask_b32_e32 v18, 0, v24, vcc
	v_add_f64 v[24:25], v[2:3], v[18:19]
	v_cmp_gt_f64_e32 vcc, 0, v[24:25]
	v_mov_b32_e32 v24, 0
	v_cndmask_b32_e32 v25, 0, v6, vcc
	v_add_f64 v[18:19], v[18:19], v[24:25]
	v_add_f64 v[25:26], v[2:3], v[18:19]
	v_cvt_i32_f64_e32 v6, v[25:26]
	v_cvt_f64_i32_e32 v[25:26], v6
	v_add_f64 v[18:19], v[18:19], -v[25:26]
	v_add_f64 v[26:27], v[2:3], v[18:19]
	v_add_f64 v[18:19], v[26:27], -v[18:19]
	v_cmp_le_f64_e32 vcc, 0.5, v[26:27]
	v_add_f64 v[2:3], v[2:3], -v[18:19]
	v_add_f64 v[2:3], v[4:5], v[2:3]
	v_addc_co_u32_e64 v4, s[2:3], 0, v6, vcc
	buffer_store_dword v4, off, s[96:99], 0 offset:160 ; 4-byte Folded Spill
	v_mov_b32_e32 v4, 0x3ff00000
	v_cndmask_b32_e32 v25, 0, v4, vcc
	v_add_f64 v[4:5], v[26:27], -v[24:25]
	s_mov_b32 s2, 0x54442d18
	s_mov_b32 s3, 0x3ff921fb
	v_add_f64 v[18:19], v[4:5], v[2:3]
	v_add_f64 v[4:5], v[18:19], -v[4:5]
	v_add_f64 v[2:3], v[2:3], -v[4:5]
	v_mul_f64 v[4:5], v[18:19], s[2:3]
	v_fma_f64 v[24:25], v[18:19], s[2:3], -v[4:5]
	v_fma_f64 v[18:19], v[18:19], s[18:19], v[24:25]
	v_fma_f64 v[2:3], v[2:3], s[2:3], v[18:19]
	v_add_f64 v[41:42], v[4:5], v[2:3]
	v_add_f64 v[4:5], v[41:42], -v[4:5]
	v_add_f64 v[2:3], v[2:3], -v[4:5]
	buffer_store_dword v2, off, s[96:99], 0 offset:168 ; 4-byte Folded Spill
	s_nop 0
	buffer_store_dword v3, off, s[96:99], 0 offset:172 ; 4-byte Folded Spill
	s_andn2_saveexec_b64 s[2:3], s[16:17]
	s_cbranch_execnz .LBB1_43
	s_branch .LBB1_44
.LBB1_42:
	s_andn2_saveexec_b64 s[2:3], s[16:17]
	s_cbranch_execz .LBB1_44
.LBB1_43:
	buffer_load_dword v4, off, s[96:99], 0 offset:24 ; 4-byte Folded Reload
	buffer_load_dword v5, off, s[96:99], 0 offset:28 ; 4-byte Folded Reload
	s_mov_b32 s16, 0x6dc9c883
	s_mov_b32 s17, 0x3fe45f30
	;; [unrolled: 1-line block ×4, first 2 shown]
	s_waitcnt vmcnt(0)
	v_mul_f64 v[2:3], |v[4:5]|, s[16:17]
	s_mov_b32 s16, 0x54442d18
	s_mov_b32 s17, 0xbff921fb
	v_rndne_f64_e32 v[2:3], v[2:3]
	v_fma_f64 v[4:5], v[2:3], s[16:17], |v[4:5]|
	v_mul_f64 v[18:19], v[2:3], s[18:19]
	s_mov_b32 s16, 0x252049c0
	s_mov_b32 s17, 0xb97b839a
	v_add_f64 v[24:25], v[4:5], v[18:19]
	v_add_f64 v[26:27], v[4:5], -v[24:25]
	v_fma_f64 v[4:5], v[2:3], s[18:19], v[4:5]
	s_mov_b32 s19, 0x3c91a626
	v_add_f64 v[26:27], v[26:27], v[18:19]
	v_add_f64 v[24:25], v[24:25], -v[4:5]
	v_fma_f64 v[18:19], v[2:3], s[18:19], v[18:19]
	v_add_f64 v[24:25], v[24:25], v[26:27]
	v_add_f64 v[18:19], v[24:25], -v[18:19]
	v_fma_f64 v[18:19], v[2:3], s[16:17], v[18:19]
	v_cvt_i32_f64_e32 v2, v[2:3]
	v_add_f64 v[41:42], v[4:5], v[18:19]
	v_add_f64 v[4:5], v[41:42], -v[4:5]
	v_add_f64 v[4:5], v[18:19], -v[4:5]
	buffer_store_dword v4, off, s[96:99], 0 offset:168 ; 4-byte Folded Spill
	s_nop 0
	buffer_store_dword v5, off, s[96:99], 0 offset:172 ; 4-byte Folded Spill
	buffer_store_dword v2, off, s[96:99], 0 offset:160 ; 4-byte Folded Spill
.LBB1_44:
	s_or_b64 exec, exec, s[2:3]
                                        ; implicit-def: $vgpr2
                                        ; kill: killed $vgpr2
                                        ; implicit-def: $vgpr49_vgpr50
                                        ; implicit-def: $vgpr2_vgpr3
                                        ; kill: killed $vgpr2_vgpr3
	s_mov_b64 s[2:3], exec
	s_and_b64 s[18:19], s[2:3], s[10:11]
	v_mov_b32_e32 v16, v59
	s_xor_b64 s[16:17], s[18:19], s[2:3]
	v_mov_b32_e32 v17, v60
	s_mov_b64 exec, s[18:19]
	s_cbranch_execz .LBB1_46
; %bb.45:
	buffer_load_dword v6, off, s[96:99], 0 offset:24 ; 4-byte Folded Reload
	buffer_load_dword v7, off, s[96:99], 0 offset:28 ; 4-byte Folded Reload
	s_mov_b32 s2, 0
	s_mov_b32 s3, 0x7b000000
	;; [unrolled: 1-line block ×4, first 2 shown]
	s_waitcnt vmcnt(0)
	v_cmp_ge_f64_e64 vcc, |v[6:7]|, s[2:3]
	s_movk_i32 s2, 0xff80
	v_ldexp_f64 v[2:3], |v[6:7]|, s2
	v_and_b32_e32 v4, 0x7fffffff, v7
	s_mov_b32 s2, 0
	s_mov_b32 s3, 0x7ff00000
	v_cndmask_b32_e32 v5, v4, v3, vcc
	v_cndmask_b32_e32 v4, v6, v2, vcc
	v_mul_f64 v[24:25], v[31:32], v[4:5]
	v_mul_f64 v[2:3], v[33:34], v[4:5]
	;; [unrolled: 1-line block ×3, first 2 shown]
	v_mov_b32_e32 v6, v61
	v_mov_b32_e32 v7, v62
	v_fma_f64 v[26:27], v[31:32], v[4:5], -v[24:25]
	v_add_f64 v[35:36], v[2:3], v[26:27]
	v_add_f64 v[55:56], v[35:36], -v[2:3]
	v_add_f64 v[49:50], v[24:25], v[35:36]
	v_add_f64 v[26:27], v[26:27], -v[55:56]
	v_add_f64 v[55:56], v[35:36], -v[55:56]
	v_ldexp_f64 v[18:19], v[49:50], -2
	v_add_f64 v[55:56], v[2:3], -v[55:56]
	v_fract_f64_e32 v[53:54], v[18:19]
	v_cmp_neq_f64_e64 vcc, |v[18:19]|, s[2:3]
	v_add_f64 v[26:27], v[26:27], v[55:56]
	v_fma_f64 v[55:56], v[33:34], v[4:5], -v[2:3]
	v_add_f64 v[2:3], v[49:50], -v[24:25]
	v_fma_f64 v[4:5], v[20:21], v[4:5], -v[57:58]
	v_add_f64 v[59:60], v[57:58], v[55:56]
	v_add_f64 v[24:25], v[35:36], -v[2:3]
	v_add_f64 v[61:62], v[59:60], v[26:27]
	v_add_f64 v[35:36], v[61:62], -v[59:60]
	v_add_f64 v[2:3], v[24:25], v[61:62]
	v_add_f64 v[26:27], v[26:27], -v[35:36]
	v_add_f64 v[35:36], v[61:62], -v[35:36]
	v_add_f64 v[24:25], v[2:3], -v[24:25]
	;; [unrolled: 1-line block ×4, first 2 shown]
	v_mov_b32_e32 v62, v7
	v_mov_b32_e32 v61, v6
	;; [unrolled: 1-line block ×3, first 2 shown]
	v_add_f64 v[26:27], v[26:27], v[35:36]
	v_add_f64 v[35:36], v[59:60], -v[57:58]
	v_add_f64 v[49:50], v[55:56], -v[35:36]
	;; [unrolled: 1-line block ×3, first 2 shown]
	v_mov_b32_e32 v60, v17
	v_mov_b32_e32 v59, v16
	v_add_f64 v[35:36], v[57:58], -v[35:36]
	v_add_f64 v[35:36], v[49:50], v[35:36]
	v_add_f64 v[26:27], v[35:36], v[26:27]
	;; [unrolled: 1-line block ×4, first 2 shown]
	v_ldexp_f64 v[24:25], v[53:54], 2
	v_cndmask_b32_e32 v19, 0, v25, vcc
	v_cndmask_b32_e32 v18, 0, v24, vcc
	v_add_f64 v[24:25], v[2:3], v[18:19]
	v_cmp_gt_f64_e32 vcc, 0, v[24:25]
	v_mov_b32_e32 v24, 0
	v_cndmask_b32_e32 v25, 0, v6, vcc
	v_add_f64 v[18:19], v[18:19], v[24:25]
	v_add_f64 v[25:26], v[2:3], v[18:19]
	v_cvt_i32_f64_e32 v6, v[25:26]
	v_cvt_f64_i32_e32 v[25:26], v6
	v_add_f64 v[18:19], v[18:19], -v[25:26]
	v_add_f64 v[26:27], v[2:3], v[18:19]
	v_add_f64 v[18:19], v[26:27], -v[18:19]
	v_cmp_le_f64_e32 vcc, 0.5, v[26:27]
	v_add_f64 v[2:3], v[2:3], -v[18:19]
	v_add_f64 v[2:3], v[4:5], v[2:3]
	v_addc_co_u32_e64 v4, s[2:3], 0, v6, vcc
	buffer_store_dword v4, off, s[96:99], 0 offset:184 ; 4-byte Folded Spill
	v_mov_b32_e32 v4, 0x3ff00000
	v_cndmask_b32_e32 v25, 0, v4, vcc
	v_add_f64 v[4:5], v[26:27], -v[24:25]
	s_mov_b32 s2, 0x54442d18
	s_mov_b32 s3, 0x3ff921fb
	v_add_f64 v[18:19], v[4:5], v[2:3]
	v_add_f64 v[4:5], v[18:19], -v[4:5]
	v_add_f64 v[2:3], v[2:3], -v[4:5]
	v_mul_f64 v[4:5], v[18:19], s[2:3]
	v_fma_f64 v[24:25], v[18:19], s[2:3], -v[4:5]
	v_fma_f64 v[18:19], v[18:19], s[18:19], v[24:25]
	v_fma_f64 v[2:3], v[2:3], s[2:3], v[18:19]
	v_add_f64 v[49:50], v[4:5], v[2:3]
	v_add_f64 v[4:5], v[49:50], -v[4:5]
	v_add_f64 v[2:3], v[2:3], -v[4:5]
	buffer_store_dword v2, off, s[96:99], 0 offset:200 ; 4-byte Folded Spill
	s_nop 0
	buffer_store_dword v3, off, s[96:99], 0 offset:204 ; 4-byte Folded Spill
.LBB1_46:
	s_andn2_saveexec_b64 s[2:3], s[16:17]
	s_cbranch_execz .LBB1_48
; %bb.47:
	buffer_load_dword v4, off, s[96:99], 0 offset:24 ; 4-byte Folded Reload
	buffer_load_dword v5, off, s[96:99], 0 offset:28 ; 4-byte Folded Reload
	s_mov_b32 s16, 0x6dc9c883
	s_mov_b32 s17, 0x3fe45f30
	;; [unrolled: 1-line block ×4, first 2 shown]
	s_waitcnt vmcnt(0)
	v_mul_f64 v[2:3], |v[4:5]|, s[16:17]
	s_mov_b32 s16, 0x54442d18
	s_mov_b32 s17, 0xbff921fb
	v_rndne_f64_e32 v[2:3], v[2:3]
	v_fma_f64 v[4:5], v[2:3], s[16:17], |v[4:5]|
	v_mul_f64 v[18:19], v[2:3], s[18:19]
	s_mov_b32 s16, 0x252049c0
	s_mov_b32 s17, 0xb97b839a
	v_add_f64 v[24:25], v[4:5], v[18:19]
	v_add_f64 v[26:27], v[4:5], -v[24:25]
	v_fma_f64 v[4:5], v[2:3], s[18:19], v[4:5]
	s_mov_b32 s19, 0x3c91a626
	v_add_f64 v[26:27], v[26:27], v[18:19]
	v_add_f64 v[24:25], v[24:25], -v[4:5]
	v_fma_f64 v[18:19], v[2:3], s[18:19], v[18:19]
	v_add_f64 v[24:25], v[24:25], v[26:27]
	v_add_f64 v[18:19], v[24:25], -v[18:19]
	v_fma_f64 v[18:19], v[2:3], s[16:17], v[18:19]
	v_cvt_i32_f64_e32 v2, v[2:3]
	v_add_f64 v[49:50], v[4:5], v[18:19]
	v_add_f64 v[4:5], v[49:50], -v[4:5]
	v_add_f64 v[4:5], v[18:19], -v[4:5]
	buffer_store_dword v4, off, s[96:99], 0 offset:200 ; 4-byte Folded Spill
	s_nop 0
	buffer_store_dword v5, off, s[96:99], 0 offset:204 ; 4-byte Folded Spill
	buffer_store_dword v2, off, s[96:99], 0 offset:184 ; 4-byte Folded Spill
.LBB1_48:
	s_or_b64 exec, exec, s[2:3]
	s_and_b64 vcc, exec, s[6:7]
	buffer_store_dword v8, off, s[96:99], 0 offset:40 ; 4-byte Folded Spill
	s_nop 0
	buffer_store_dword v9, off, s[96:99], 0 offset:44 ; 4-byte Folded Spill
	buffer_store_dword v10, off, s[96:99], 0 offset:48 ; 4-byte Folded Spill
	s_nop 0
	buffer_store_dword v11, off, s[96:99], 0 offset:52 ; 4-byte Folded Spill
	buffer_store_dword v12, off, s[96:99], 0 offset:56 ; 4-byte Folded Spill
	s_nop 0
	buffer_store_dword v13, off, s[96:99], 0 offset:60 ; 4-byte Folded Spill
	s_cbranch_vccz .LBB1_50
; %bb.49:
	s_mov_b32 s2, 0
	s_mov_b32 s3, 0x7b000000
	v_cmp_ge_f64_e64 vcc, |v[0:1]|, s[2:3]
	s_movk_i32 s2, 0xff80
	v_ldexp_f64 v[2:3], |v[0:1]|, s2
	v_and_b32_e32 v4, 0x7fffffff, v1
	v_mov_b32_e32 v6, v61
	v_mov_b32_e32 v7, v62
	s_mov_b32 s2, 0
	s_mov_b32 s3, 0x7ff00000
	;; [unrolled: 1-line block ×3, first 2 shown]
	v_cndmask_b32_e32 v5, v4, v3, vcc
	v_cndmask_b32_e32 v4, v0, v2, vcc
	v_mul_f64 v[24:25], v[59:60], v[4:5]
	v_mul_f64 v[2:3], v[61:62], v[4:5]
	v_fma_f64 v[26:27], v[59:60], v[4:5], -v[24:25]
	v_add_f64 v[35:36], v[2:3], v[26:27]
	v_add_f64 v[59:60], v[35:36], -v[2:3]
	v_add_f64 v[55:56], v[24:25], v[35:36]
	v_add_f64 v[26:27], v[26:27], -v[59:60]
	v_add_f64 v[59:60], v[35:36], -v[59:60]
	v_ldexp_f64 v[18:19], v[55:56], -2
	v_add_f64 v[59:60], v[2:3], -v[59:60]
	v_fract_f64_e32 v[57:58], v[18:19]
	v_cmp_neq_f64_e64 vcc, |v[18:19]|, s[2:3]
	v_add_f64 v[26:27], v[26:27], v[59:60]
	v_fma_f64 v[59:60], v[61:62], v[4:5], -v[2:3]
	v_mul_f64 v[61:62], v[51:52], v[4:5]
	v_add_f64 v[2:3], v[55:56], -v[24:25]
	v_add_f64 v[14:15], v[61:62], v[59:60]
	v_add_f64 v[24:25], v[35:36], -v[2:3]
	v_fma_f64 v[4:5], v[51:52], v[4:5], -v[61:62]
	v_add_f64 v[12:13], v[14:15], v[26:27]
	v_add_f64 v[2:3], v[24:25], v[12:13]
	v_add_f64 v[35:36], v[12:13], -v[14:15]
	v_add_f64 v[24:25], v[2:3], -v[24:25]
	;; [unrolled: 1-line block ×6, first 2 shown]
	v_add_f64 v[12:13], v[26:27], v[12:13]
	v_add_f64 v[26:27], v[14:15], -v[61:62]
	v_add_f64 v[14:15], v[14:15], -v[26:27]
	;; [unrolled: 1-line block ×4, first 2 shown]
	v_mov_b32_e32 v62, v7
	v_mov_b32_e32 v61, v6
	v_add_f64 v[14:15], v[35:36], v[14:15]
	v_add_f64 v[12:13], v[14:15], v[12:13]
	;; [unrolled: 1-line block ×3, first 2 shown]
	v_ldexp_f64 v[12:13], v[57:58], 2
	v_add_f64 v[4:5], v[24:25], v[4:5]
	v_cndmask_b32_e32 v13, 0, v13, vcc
	v_cndmask_b32_e32 v12, 0, v12, vcc
	v_add_f64 v[14:15], v[2:3], v[12:13]
	v_cmp_gt_f64_e32 vcc, 0, v[14:15]
	s_and_b64 s[2:3], vcc, exec
	s_cselect_b32 s17, 0x40100000, 0
	v_add_f64 v[12:13], v[12:13], s[16:17]
	v_add_f64 v[14:15], v[2:3], v[12:13]
	v_cvt_i32_f64_e32 v6, v[14:15]
	v_cvt_f64_i32_e32 v[14:15], v6
	v_add_f64 v[12:13], v[12:13], -v[14:15]
	v_add_f64 v[14:15], v[2:3], v[12:13]
	v_add_f64 v[12:13], v[14:15], -v[12:13]
	v_cmp_le_f64_e32 vcc, 0.5, v[14:15]
	v_add_f64 v[2:3], v[2:3], -v[12:13]
	s_and_b64 s[2:3], vcc, exec
	s_cselect_b32 s17, 0x3ff00000, 0
	v_add_f64 v[2:3], v[4:5], v[2:3]
	v_addc_co_u32_e64 v4, s[2:3], 0, v6, vcc
	buffer_store_dword v4, off, s[96:99], 0 offset:208 ; 4-byte Folded Spill
	v_add_f64 v[4:5], v[14:15], -s[16:17]
	s_mov_b32 s2, 0x54442d18
	s_mov_b32 s3, 0x3ff921fb
	s_mov_b32 s16, 0x33145c07
	s_mov_b32 s17, 0x3c91a626
	v_add_f64 v[12:13], v[4:5], v[2:3]
	v_add_f64 v[4:5], v[12:13], -v[4:5]
	v_mul_f64 v[14:15], v[12:13], s[2:3]
	v_add_f64 v[2:3], v[2:3], -v[4:5]
	v_fma_f64 v[4:5], v[12:13], s[2:3], -v[14:15]
	v_fma_f64 v[4:5], v[12:13], s[16:17], v[4:5]
	v_fma_f64 v[2:3], v[2:3], s[2:3], v[4:5]
	v_add_f64 v[4:5], v[14:15], v[2:3]
	v_add_f64 v[12:13], v[4:5], -v[14:15]
	v_add_f64 v[2:3], v[2:3], -v[12:13]
	buffer_store_dword v2, off, s[96:99], 0 offset:216 ; 4-byte Folded Spill
	s_nop 0
	buffer_store_dword v3, off, s[96:99], 0 offset:220 ; 4-byte Folded Spill
	s_cbranch_execz .LBB1_51
	s_branch .LBB1_52
.LBB1_50:
                                        ; implicit-def: $vgpr2
                                        ; kill: killed $vgpr2
                                        ; implicit-def: $vgpr4_vgpr5
                                        ; implicit-def: $vgpr2_vgpr3
                                        ; kill: killed $vgpr2_vgpr3
.LBB1_51:
	s_mov_b32 s2, 0x6dc9c883
	s_mov_b32 s3, 0x3fe45f30
	v_mul_f64 v[2:3], |v[0:1]|, s[2:3]
	s_mov_b32 s2, 0x54442d18
	s_mov_b32 s3, 0xbff921fb
	;; [unrolled: 1-line block ×4, first 2 shown]
	v_rndne_f64_e32 v[2:3], v[2:3]
	v_fma_f64 v[4:5], v[2:3], s[2:3], |v[0:1]|
	v_mul_f64 v[18:19], v[2:3], s[16:17]
	s_mov_b32 s2, 0x252049c0
	s_mov_b32 s3, 0xb97b839a
	v_fma_f64 v[35:36], v[2:3], s[16:17], v[4:5]
	v_add_f64 v[24:25], v[4:5], v[18:19]
	s_mov_b32 s17, 0x3c91a626
	v_add_f64 v[26:27], v[4:5], -v[24:25]
	v_add_f64 v[24:25], v[24:25], -v[35:36]
	v_add_f64 v[4:5], v[26:27], v[18:19]
	v_fma_f64 v[18:19], v[2:3], s[16:17], v[18:19]
	v_add_f64 v[4:5], v[24:25], v[4:5]
	v_add_f64 v[4:5], v[4:5], -v[18:19]
	v_fma_f64 v[18:19], v[2:3], s[2:3], v[4:5]
	v_cvt_i32_f64_e32 v2, v[2:3]
	v_add_f64 v[4:5], v[35:36], v[18:19]
	v_add_f64 v[24:25], v[4:5], -v[35:36]
	v_add_f64 v[6:7], v[18:19], -v[24:25]
	buffer_store_dword v6, off, s[96:99], 0 offset:216 ; 4-byte Folded Spill
	s_nop 0
	buffer_store_dword v7, off, s[96:99], 0 offset:220 ; 4-byte Folded Spill
	buffer_store_dword v2, off, s[96:99], 0 offset:208 ; 4-byte Folded Spill
.LBB1_52:
                                        ; implicit-def: $vgpr35
                                        ; implicit-def: $vgpr57_vgpr58
                                        ; implicit-def: $vgpr59_vgpr60
	s_and_saveexec_b64 s[2:3], s[10:11]
	s_xor_b64 s[16:17], exec, s[2:3]
	s_cbranch_execz .LBB1_54
; %bb.53:
	buffer_load_dword v7, off, s[96:99], 0 offset:24 ; 4-byte Folded Reload
	buffer_load_dword v8, off, s[96:99], 0 offset:28 ; 4-byte Folded Reload
	s_mov_b32 s2, 0
	s_mov_b32 s3, 0x7b000000
	;; [unrolled: 1-line block ×4, first 2 shown]
	s_waitcnt vmcnt(0)
	v_cmp_ge_f64_e64 vcc, |v[7:8]|, s[2:3]
	s_movk_i32 s2, 0xff80
	v_ldexp_f64 v[2:3], |v[7:8]|, s2
	v_and_b32_e32 v6, 0x7fffffff, v8
	s_mov_b32 s2, 0
	s_mov_b32 s3, 0x7ff00000
	v_cndmask_b32_e32 v13, v6, v3, vcc
	v_cndmask_b32_e32 v12, v7, v2, vcc
	v_mul_f64 v[14:15], v[31:32], v[12:13]
	v_mul_f64 v[2:3], v[33:34], v[12:13]
	;; [unrolled: 1-line block ×3, first 2 shown]
	v_fma_f64 v[18:19], v[31:32], v[12:13], -v[14:15]
	v_add_f64 v[24:25], v[2:3], v[18:19]
	v_add_f64 v[59:60], v[24:25], -v[2:3]
	v_add_f64 v[35:36], v[14:15], v[24:25]
	v_add_f64 v[18:19], v[18:19], -v[59:60]
	v_add_f64 v[59:60], v[24:25], -v[59:60]
	v_ldexp_f64 v[26:27], v[35:36], -2
	v_add_f64 v[59:60], v[2:3], -v[59:60]
	v_fract_f64_e32 v[57:58], v[26:27]
	v_cmp_neq_f64_e64 vcc, |v[26:27]|, s[2:3]
	v_add_f64 v[18:19], v[18:19], v[59:60]
	v_fma_f64 v[59:60], v[33:34], v[12:13], -v[2:3]
	v_add_f64 v[2:3], v[35:36], -v[14:15]
	v_add_f64 v[8:9], v[6:7], v[59:60]
	v_add_f64 v[14:15], v[24:25], -v[2:3]
	v_add_f64 v[10:11], v[8:9], v[18:19]
	v_add_f64 v[2:3], v[14:15], v[10:11]
	v_add_f64 v[24:25], v[10:11], -v[8:9]
	v_add_f64 v[14:15], v[2:3], -v[14:15]
	;; [unrolled: 1-line block ×6, first 2 shown]
	v_add_f64 v[10:11], v[18:19], v[10:11]
	v_add_f64 v[18:19], v[8:9], -v[6:7]
	v_add_f64 v[8:9], v[8:9], -v[18:19]
	;; [unrolled: 1-line block ×4, first 2 shown]
	v_fma_f64 v[6:7], v[20:21], v[12:13], -v[6:7]
	v_add_f64 v[8:9], v[24:25], v[8:9]
	v_add_f64 v[8:9], v[8:9], v[10:11]
	;; [unrolled: 1-line block ×4, first 2 shown]
	v_ldexp_f64 v[6:7], v[57:58], 2
	v_cndmask_b32_e32 v7, 0, v7, vcc
	v_cndmask_b32_e32 v6, 0, v6, vcc
	v_add_f64 v[8:9], v[2:3], v[6:7]
	v_cmp_gt_f64_e32 vcc, 0, v[8:9]
	v_mov_b32_e32 v8, 0x40100000
	v_cndmask_b32_e32 v9, 0, v8, vcc
	v_mov_b32_e32 v8, 0
	v_add_f64 v[6:7], v[6:7], v[8:9]
	v_add_f64 v[9:10], v[2:3], v[6:7]
	v_cvt_i32_f64_e32 v12, v[9:10]
	v_cvt_f64_i32_e32 v[9:10], v12
	v_add_f64 v[6:7], v[6:7], -v[9:10]
	v_add_f64 v[10:11], v[2:3], v[6:7]
	v_add_f64 v[6:7], v[10:11], -v[6:7]
	v_cmp_le_f64_e32 vcc, 0.5, v[10:11]
	v_add_f64 v[2:3], v[2:3], -v[6:7]
	v_mov_b32_e32 v6, 0x3ff00000
	v_cndmask_b32_e32 v9, 0, v6, vcc
	v_add_f64 v[6:7], v[10:11], -v[8:9]
	v_addc_co_u32_e64 v35, s[2:3], 0, v12, vcc
	s_mov_b32 s2, 0x54442d18
	s_mov_b32 s3, 0x3ff921fb
	v_add_f64 v[2:3], v[18:19], v[2:3]
	v_add_f64 v[8:9], v[6:7], v[2:3]
	v_add_f64 v[6:7], v[8:9], -v[6:7]
	v_add_f64 v[2:3], v[2:3], -v[6:7]
	v_mul_f64 v[6:7], v[8:9], s[2:3]
	v_fma_f64 v[10:11], v[8:9], s[2:3], -v[6:7]
	v_fma_f64 v[8:9], v[8:9], s[18:19], v[10:11]
	v_fma_f64 v[2:3], v[2:3], s[2:3], v[8:9]
	v_add_f64 v[57:58], v[6:7], v[2:3]
	v_add_f64 v[6:7], v[57:58], -v[6:7]
	v_add_f64 v[59:60], v[2:3], -v[6:7]
	s_andn2_saveexec_b64 s[2:3], s[16:17]
	s_cbranch_execz .LBB1_56
	s_branch .LBB1_55
.LBB1_54:
	s_andn2_saveexec_b64 s[2:3], s[16:17]
	s_cbranch_execz .LBB1_56
.LBB1_55:
	buffer_load_dword v6, off, s[96:99], 0 offset:24 ; 4-byte Folded Reload
	buffer_load_dword v7, off, s[96:99], 0 offset:28 ; 4-byte Folded Reload
	s_mov_b32 s16, 0x6dc9c883
	s_mov_b32 s17, 0x3fe45f30
	;; [unrolled: 1-line block ×4, first 2 shown]
	s_waitcnt vmcnt(0)
	v_mul_f64 v[2:3], |v[6:7]|, s[16:17]
	s_mov_b32 s16, 0x54442d18
	s_mov_b32 s17, 0xbff921fb
	v_rndne_f64_e32 v[2:3], v[2:3]
	v_fma_f64 v[12:13], v[2:3], s[16:17], |v[6:7]|
	v_mul_f64 v[14:15], v[2:3], s[18:19]
	s_mov_b32 s16, 0x252049c0
	s_mov_b32 s17, 0xb97b839a
	v_cvt_i32_f64_e32 v35, v[2:3]
	v_add_f64 v[18:19], v[12:13], v[14:15]
	v_add_f64 v[24:25], v[12:13], -v[18:19]
	v_fma_f64 v[12:13], v[2:3], s[18:19], v[12:13]
	s_mov_b32 s19, 0x3c91a626
	v_add_f64 v[24:25], v[24:25], v[14:15]
	v_add_f64 v[18:19], v[18:19], -v[12:13]
	v_fma_f64 v[14:15], v[2:3], s[18:19], v[14:15]
	v_add_f64 v[18:19], v[18:19], v[24:25]
	v_add_f64 v[14:15], v[18:19], -v[14:15]
	v_fma_f64 v[14:15], v[2:3], s[16:17], v[14:15]
	v_add_f64 v[57:58], v[12:13], v[14:15]
	v_add_f64 v[12:13], v[57:58], -v[12:13]
	v_add_f64 v[59:60], v[14:15], -v[12:13]
.LBB1_56:
	s_or_b64 exec, exec, s[2:3]
                                        ; implicit-def: $vgpr28
                                        ; implicit-def: $vgpr2_vgpr3
                                        ; implicit-def: $vgpr26_vgpr27
	s_and_saveexec_b64 s[2:3], s[10:11]
	s_xor_b64 s[16:17], exec, s[2:3]
	s_cbranch_execz .LBB1_58
; %bb.57:
	buffer_load_dword v8, off, s[96:99], 0 offset:24 ; 4-byte Folded Reload
	buffer_load_dword v9, off, s[96:99], 0 offset:28 ; 4-byte Folded Reload
	s_mov_b32 s2, 0
	s_mov_b32 s3, 0x7b000000
	;; [unrolled: 1-line block ×4, first 2 shown]
	s_waitcnt vmcnt(0)
	v_cmp_ge_f64_e64 vcc, |v[8:9]|, s[2:3]
	s_movk_i32 s2, 0xff80
	v_ldexp_f64 v[2:3], |v[8:9]|, s2
	v_and_b32_e32 v6, 0x7fffffff, v9
	s_mov_b32 s2, 0
	s_mov_b32 s3, 0x7ff00000
	v_cndmask_b32_e32 v7, v6, v3, vcc
	v_cndmask_b32_e32 v6, v8, v2, vcc
	v_mul_f64 v[8:9], v[31:32], v[6:7]
	v_mul_f64 v[2:3], v[33:34], v[6:7]
	;; [unrolled: 1-line block ×3, first 2 shown]
	v_fma_f64 v[10:11], v[31:32], v[6:7], -v[8:9]
	v_add_f64 v[12:13], v[2:3], v[10:11]
	v_add_f64 v[18:19], v[12:13], -v[2:3]
	v_add_f64 v[14:15], v[8:9], v[12:13]
	v_add_f64 v[10:11], v[10:11], -v[18:19]
	v_add_f64 v[18:19], v[12:13], -v[18:19]
	v_ldexp_f64 v[26:27], v[14:15], -2
	v_add_f64 v[18:19], v[2:3], -v[18:19]
	v_fract_f64_e32 v[24:25], v[26:27]
	v_cmp_neq_f64_e64 vcc, |v[26:27]|, s[2:3]
	v_add_f64 v[10:11], v[10:11], v[18:19]
	v_fma_f64 v[18:19], v[33:34], v[6:7], -v[2:3]
	v_add_f64 v[2:3], v[14:15], -v[8:9]
	v_fma_f64 v[6:7], v[20:21], v[6:7], -v[39:40]
	v_add_f64 v[28:29], v[39:40], v[18:19]
	v_add_f64 v[8:9], v[12:13], -v[2:3]
	v_add_f64 v[43:44], v[28:29], v[10:11]
	v_add_f64 v[12:13], v[43:44], -v[28:29]
	;; [unrolled: 2-line block ×3, first 2 shown]
	v_add_f64 v[12:13], v[43:44], -v[12:13]
	v_add_f64 v[8:9], v[2:3], -v[8:9]
	;; [unrolled: 1-line block ×4, first 2 shown]
	v_add_f64 v[10:11], v[10:11], v[12:13]
	v_add_f64 v[12:13], v[28:29], -v[39:40]
	v_add_f64 v[14:15], v[18:19], -v[12:13]
	;; [unrolled: 1-line block ×4, first 2 shown]
	v_add_f64 v[12:13], v[14:15], v[12:13]
	v_add_f64 v[10:11], v[12:13], v[10:11]
	;; [unrolled: 1-line block ×4, first 2 shown]
	v_ldexp_f64 v[6:7], v[24:25], 2
	v_cndmask_b32_e32 v7, 0, v7, vcc
	v_cndmask_b32_e32 v6, 0, v6, vcc
	v_add_f64 v[8:9], v[2:3], v[6:7]
	v_cmp_gt_f64_e32 vcc, 0, v[8:9]
	v_mov_b32_e32 v8, 0x40100000
	v_cndmask_b32_e32 v9, 0, v8, vcc
	v_mov_b32_e32 v8, 0
	v_add_f64 v[6:7], v[6:7], v[8:9]
	v_add_f64 v[9:10], v[2:3], v[6:7]
	v_cvt_i32_f64_e32 v12, v[9:10]
	v_cvt_f64_i32_e32 v[9:10], v12
	v_add_f64 v[6:7], v[6:7], -v[9:10]
	v_add_f64 v[10:11], v[2:3], v[6:7]
	v_add_f64 v[6:7], v[10:11], -v[6:7]
	v_cmp_le_f64_e32 vcc, 0.5, v[10:11]
	v_add_f64 v[2:3], v[2:3], -v[6:7]
	v_mov_b32_e32 v6, 0x3ff00000
	v_cndmask_b32_e32 v9, 0, v6, vcc
	v_add_f64 v[6:7], v[10:11], -v[8:9]
	v_addc_co_u32_e64 v28, s[2:3], 0, v12, vcc
	s_mov_b32 s2, 0x54442d18
	s_mov_b32 s3, 0x3ff921fb
	v_add_f64 v[2:3], v[18:19], v[2:3]
	v_add_f64 v[8:9], v[6:7], v[2:3]
	v_add_f64 v[6:7], v[8:9], -v[6:7]
	v_add_f64 v[2:3], v[2:3], -v[6:7]
	v_mul_f64 v[6:7], v[8:9], s[2:3]
	v_fma_f64 v[10:11], v[8:9], s[2:3], -v[6:7]
	v_fma_f64 v[8:9], v[8:9], s[18:19], v[10:11]
	v_fma_f64 v[8:9], v[2:3], s[2:3], v[8:9]
	v_add_f64 v[2:3], v[6:7], v[8:9]
	v_add_f64 v[6:7], v[2:3], -v[6:7]
	v_add_f64 v[26:27], v[8:9], -v[6:7]
	s_andn2_saveexec_b64 s[2:3], s[16:17]
	s_cbranch_execnz .LBB1_59
	s_branch .LBB1_60
.LBB1_58:
	s_andn2_saveexec_b64 s[2:3], s[16:17]
	s_cbranch_execz .LBB1_60
.LBB1_59:
	buffer_load_dword v8, off, s[96:99], 0 offset:24 ; 4-byte Folded Reload
	buffer_load_dword v9, off, s[96:99], 0 offset:28 ; 4-byte Folded Reload
	s_mov_b32 s16, 0x6dc9c883
	s_mov_b32 s17, 0x3fe45f30
	;; [unrolled: 1-line block ×4, first 2 shown]
	s_waitcnt vmcnt(0)
	v_mul_f64 v[2:3], |v[8:9]|, s[16:17]
	s_mov_b32 s16, 0x54442d18
	s_mov_b32 s17, 0xbff921fb
	v_rndne_f64_e32 v[6:7], v[2:3]
	v_fma_f64 v[2:3], v[6:7], s[16:17], |v[8:9]|
	v_mul_f64 v[8:9], v[6:7], s[18:19]
	s_mov_b32 s16, 0x252049c0
	s_mov_b32 s17, 0xb97b839a
	v_cvt_i32_f64_e32 v28, v[6:7]
	v_fma_f64 v[14:15], v[6:7], s[18:19], v[2:3]
	v_add_f64 v[10:11], v[2:3], v[8:9]
	s_mov_b32 s19, 0x3c91a626
	v_add_f64 v[12:13], v[2:3], -v[10:11]
	v_add_f64 v[10:11], v[10:11], -v[14:15]
	v_add_f64 v[2:3], v[12:13], v[8:9]
	v_fma_f64 v[8:9], v[6:7], s[18:19], v[8:9]
	v_add_f64 v[2:3], v[10:11], v[2:3]
	v_add_f64 v[2:3], v[2:3], -v[8:9]
	v_fma_f64 v[8:9], v[6:7], s[16:17], v[2:3]
	v_add_f64 v[2:3], v[14:15], v[8:9]
	v_add_f64 v[10:11], v[2:3], -v[14:15]
	v_add_f64 v[26:27], v[8:9], -v[10:11]
.LBB1_60:
	s_or_b64 exec, exec, s[2:3]
	v_mov_b32_e32 v23, v21
	s_and_b64 vcc, exec, s[6:7]
	v_mov_b32_e32 v22, v20
	s_cbranch_vccz .LBB1_62
; %bb.61:
	s_mov_b32 s2, 0
	s_mov_b32 s3, 0x7b000000
	v_cmp_ge_f64_e64 vcc, |v[0:1]|, s[2:3]
	s_movk_i32 s2, 0xff80
	v_ldexp_f64 v[6:7], |v[0:1]|, s2
	v_and_b32_e32 v8, 0x7fffffff, v1
	s_mov_b32 s2, 0
	s_mov_b32 s3, 0x7ff00000
	;; [unrolled: 1-line block ×3, first 2 shown]
	v_cndmask_b32_e32 v7, v8, v7, vcc
	v_cndmask_b32_e32 v6, v0, v6, vcc
	v_mul_f64 v[12:13], v[16:17], v[6:7]
	v_mul_f64 v[8:9], v[61:62], v[6:7]
	;; [unrolled: 1-line block ×3, first 2 shown]
	v_fma_f64 v[14:15], v[16:17], v[6:7], -v[12:13]
	v_add_f64 v[18:19], v[8:9], v[14:15]
	v_add_f64 v[39:40], v[18:19], -v[8:9]
	v_add_f64 v[24:25], v[12:13], v[18:19]
	v_add_f64 v[14:15], v[14:15], -v[39:40]
	v_add_f64 v[39:40], v[18:19], -v[39:40]
	v_ldexp_f64 v[10:11], v[24:25], -2
	v_add_f64 v[39:40], v[8:9], -v[39:40]
	v_fract_f64_e32 v[29:30], v[10:11]
	v_cmp_neq_f64_e64 vcc, |v[10:11]|, s[2:3]
	v_add_f64 v[14:15], v[14:15], v[39:40]
	v_fma_f64 v[39:40], v[61:62], v[6:7], -v[8:9]
	v_add_f64 v[8:9], v[24:25], -v[12:13]
	v_fma_f64 v[6:7], v[51:52], v[6:7], -v[43:44]
	v_add_f64 v[47:48], v[43:44], v[39:40]
	v_add_f64 v[12:13], v[18:19], -v[8:9]
	v_add_f64 v[53:54], v[47:48], v[14:15]
	v_add_f64 v[18:19], v[53:54], -v[47:48]
	;; [unrolled: 2-line block ×3, first 2 shown]
	v_add_f64 v[18:19], v[53:54], -v[18:19]
	v_add_f64 v[12:13], v[8:9], -v[12:13]
	;; [unrolled: 1-line block ×4, first 2 shown]
	v_add_f64 v[14:15], v[14:15], v[18:19]
	v_add_f64 v[18:19], v[47:48], -v[43:44]
	v_add_f64 v[24:25], v[39:40], -v[18:19]
	;; [unrolled: 1-line block ×4, first 2 shown]
	v_add_f64 v[18:19], v[24:25], v[18:19]
	v_add_f64 v[14:15], v[18:19], v[14:15]
	;; [unrolled: 1-line block ×4, first 2 shown]
	v_ldexp_f64 v[12:13], v[29:30], 2
	v_cndmask_b32_e32 v11, 0, v13, vcc
	v_cndmask_b32_e32 v10, 0, v12, vcc
	v_add_f64 v[12:13], v[8:9], v[10:11]
	v_cmp_gt_f64_e32 vcc, 0, v[12:13]
	s_and_b64 s[2:3], vcc, exec
	s_cselect_b32 s7, 0x40100000, 0
	v_add_f64 v[10:11], v[10:11], s[6:7]
	v_add_f64 v[12:13], v[8:9], v[10:11]
	v_cvt_i32_f64_e32 v14, v[12:13]
	v_cvt_f64_i32_e32 v[12:13], v14
	v_add_f64 v[10:11], v[10:11], -v[12:13]
	v_add_f64 v[12:13], v[8:9], v[10:11]
	v_add_f64 v[10:11], v[12:13], -v[10:11]
	v_cmp_le_f64_e32 vcc, 0.5, v[12:13]
	v_add_f64 v[8:9], v[8:9], -v[10:11]
	s_and_b64 s[2:3], vcc, exec
	s_cselect_b32 s7, 0x3ff00000, 0
	v_addc_co_u32_e64 v36, s[2:3], 0, v14, vcc
	s_mov_b32 s2, 0x54442d18
	s_mov_b32 s3, 0x3ff921fb
	v_add_f64 v[6:7], v[6:7], v[8:9]
	v_add_f64 v[8:9], v[12:13], -s[6:7]
	s_mov_b32 s6, 0x33145c07
	s_mov_b32 s7, 0x3c91a626
	v_add_f64 v[10:11], v[8:9], v[6:7]
	v_add_f64 v[8:9], v[10:11], -v[8:9]
	v_add_f64 v[6:7], v[6:7], -v[8:9]
	v_mul_f64 v[8:9], v[10:11], s[2:3]
	v_fma_f64 v[12:13], v[10:11], s[2:3], -v[8:9]
	v_fma_f64 v[10:11], v[10:11], s[6:7], v[12:13]
	v_fma_f64 v[10:11], v[6:7], s[2:3], v[10:11]
	v_add_f64 v[6:7], v[8:9], v[10:11]
	v_add_f64 v[8:9], v[6:7], -v[8:9]
	v_add_f64 v[8:9], v[10:11], -v[8:9]
	s_cbranch_execz .LBB1_63
	s_branch .LBB1_64
.LBB1_62:
                                        ; implicit-def: $vgpr36
                                        ; implicit-def: $vgpr6_vgpr7
                                        ; implicit-def: $vgpr8_vgpr9
.LBB1_63:
	s_mov_b32 s2, 0x6dc9c883
	s_mov_b32 s3, 0x3fe45f30
	v_mul_f64 v[6:7], |v[0:1]|, s[2:3]
	s_mov_b32 s2, 0x54442d18
	s_mov_b32 s3, 0xbff921fb
	;; [unrolled: 1-line block ×4, first 2 shown]
	v_rndne_f64_e32 v[10:11], v[6:7]
	v_fma_f64 v[6:7], v[10:11], s[2:3], |v[0:1]|
	v_mul_f64 v[8:9], v[10:11], s[6:7]
	s_mov_b32 s2, 0x252049c0
	s_mov_b32 s3, 0xb97b839a
	v_cvt_i32_f64_e32 v36, v[10:11]
	v_fma_f64 v[18:19], v[10:11], s[6:7], v[6:7]
	v_add_f64 v[12:13], v[6:7], v[8:9]
	s_mov_b32 s7, 0x3c91a626
	v_add_f64 v[14:15], v[6:7], -v[12:13]
	v_add_f64 v[12:13], v[12:13], -v[18:19]
	v_add_f64 v[6:7], v[14:15], v[8:9]
	v_fma_f64 v[8:9], v[10:11], s[6:7], v[8:9]
	v_add_f64 v[6:7], v[12:13], v[6:7]
	v_add_f64 v[6:7], v[6:7], -v[8:9]
	v_fma_f64 v[8:9], v[10:11], s[2:3], v[6:7]
	v_add_f64 v[6:7], v[18:19], v[8:9]
	v_add_f64 v[12:13], v[6:7], -v[18:19]
	v_add_f64 v[8:9], v[8:9], -v[12:13]
.LBB1_64:
                                        ; implicit-def: $vgpr0
                                        ; implicit-def: $vgpr10_vgpr11
                                        ; implicit-def: $vgpr24_vgpr25
	s_mov_b64 s[2:3], exec
	s_and_b64 s[14:15], s[2:3], s[14:15]
	v_mov_b32_e32 v56, v32
	s_xor_b64 s[6:7], s[14:15], s[2:3]
	v_mov_b32_e32 v55, v31
	s_mov_b64 exec, s[14:15]
	s_cbranch_execz .LBB1_66
; %bb.65:
	buffer_load_dword v12, off, s[96:99], 0 offset:480 ; 4-byte Folded Reload
	buffer_load_dword v13, off, s[96:99], 0 offset:484 ; 4-byte Folded Reload
	;; [unrolled: 1-line block ×6, first 2 shown]
	s_mov_b32 s2, 0
	s_mov_b32 s3, 0x7b000000
	;; [unrolled: 1-line block ×4, first 2 shown]
	s_waitcnt vmcnt(4)
	v_cmp_ge_f64_e64 vcc, |v[12:13]|, s[2:3]
	s_movk_i32 s2, 0xff80
	v_ldexp_f64 v[10:11], |v[12:13]|, s2
	v_and_b32_e32 v0, 0x7fffffff, v13
	s_mov_b32 s2, 0
	s_mov_b32 s3, 0x7ff00000
	v_cndmask_b32_e32 v13, v0, v11, vcc
	v_cndmask_b32_e32 v12, v12, v10, vcc
	s_waitcnt vmcnt(0)
	v_mul_f64 v[14:15], v[18:19], v[12:13]
	v_mul_f64 v[10:11], v[16:17], v[12:13]
	v_mov_b32_e32 v0, 0x40100000
	v_fma_f64 v[24:25], v[18:19], v[12:13], -v[14:15]
	v_add_f64 v[29:30], v[10:11], v[24:25]
	v_add_f64 v[47:48], v[29:30], -v[10:11]
	v_add_f64 v[39:40], v[14:15], v[29:30]
	v_add_f64 v[24:25], v[24:25], -v[47:48]
	v_add_f64 v[47:48], v[29:30], -v[47:48]
	v_ldexp_f64 v[18:19], v[39:40], -2
	v_add_f64 v[47:48], v[10:11], -v[47:48]
	v_fract_f64_e32 v[43:44], v[18:19]
	v_cmp_neq_f64_e64 vcc, |v[18:19]|, s[2:3]
	v_add_f64 v[24:25], v[24:25], v[47:48]
	v_fma_f64 v[47:48], v[16:17], v[12:13], -v[10:11]
	buffer_load_dword v16, off, s[96:99], 0 offset:40 ; 4-byte Folded Reload
	buffer_load_dword v17, off, s[96:99], 0 offset:44 ; 4-byte Folded Reload
	v_add_f64 v[10:11], v[39:40], -v[14:15]
	v_add_f64 v[14:15], v[29:30], -v[10:11]
	s_waitcnt vmcnt(0)
	v_mul_f64 v[53:54], v[16:17], v[12:13]
	v_add_f64 v[20:21], v[53:54], v[47:48]
	v_fma_f64 v[12:13], v[16:17], v[12:13], -v[53:54]
	v_add_f64 v[31:32], v[20:21], v[24:25]
	v_add_f64 v[29:30], v[31:32], -v[20:21]
	v_add_f64 v[10:11], v[14:15], v[31:32]
	v_add_f64 v[24:25], v[24:25], -v[29:30]
	v_add_f64 v[29:30], v[31:32], -v[29:30]
	v_add_f64 v[14:15], v[10:11], -v[14:15]
	v_add_f64 v[29:30], v[20:21], -v[29:30]
	v_add_f64 v[14:15], v[31:32], -v[14:15]
	v_add_f64 v[24:25], v[24:25], v[29:30]
	v_add_f64 v[29:30], v[20:21], -v[53:54]
	v_add_f64 v[20:21], v[20:21], -v[29:30]
	;; [unrolled: 1-line block ×4, first 2 shown]
	v_add_f64 v[20:21], v[31:32], v[20:21]
	v_mov_b32_e32 v31, v55
	v_mov_b32_e32 v32, v56
	v_add_f64 v[20:21], v[20:21], v[24:25]
	v_add_f64 v[12:13], v[12:13], v[20:21]
	;; [unrolled: 1-line block ×3, first 2 shown]
	v_ldexp_f64 v[14:15], v[43:44], 2
	v_cndmask_b32_e32 v15, 0, v15, vcc
	v_cndmask_b32_e32 v14, 0, v14, vcc
	v_add_f64 v[18:19], v[10:11], v[14:15]
	v_cmp_gt_f64_e32 vcc, 0, v[18:19]
	v_mov_b32_e32 v18, 0
	v_cndmask_b32_e32 v19, 0, v0, vcc
	v_add_f64 v[14:15], v[14:15], v[18:19]
	v_add_f64 v[19:20], v[10:11], v[14:15]
	v_cvt_i32_f64_e32 v0, v[19:20]
	v_cvt_f64_i32_e32 v[19:20], v0
	v_add_f64 v[14:15], v[14:15], -v[19:20]
	v_add_f64 v[20:21], v[10:11], v[14:15]
	v_add_f64 v[14:15], v[20:21], -v[14:15]
	v_cmp_le_f64_e32 vcc, 0.5, v[20:21]
	v_add_f64 v[10:11], v[10:11], -v[14:15]
	v_addc_co_u32_e64 v0, s[2:3], 0, v0, vcc
	s_mov_b32 s2, 0x54442d18
	s_mov_b32 s3, 0x3ff921fb
	v_add_f64 v[10:11], v[12:13], v[10:11]
	v_mov_b32_e32 v12, 0x3ff00000
	v_cndmask_b32_e32 v19, 0, v12, vcc
	v_add_f64 v[12:13], v[20:21], -v[18:19]
	v_add_f64 v[14:15], v[12:13], v[10:11]
	v_add_f64 v[12:13], v[14:15], -v[12:13]
	v_add_f64 v[10:11], v[10:11], -v[12:13]
	v_mul_f64 v[12:13], v[14:15], s[2:3]
	v_fma_f64 v[18:19], v[14:15], s[2:3], -v[12:13]
	v_fma_f64 v[14:15], v[14:15], s[14:15], v[18:19]
	v_fma_f64 v[14:15], v[10:11], s[2:3], v[14:15]
	v_add_f64 v[10:11], v[12:13], v[14:15]
	v_add_f64 v[12:13], v[10:11], -v[12:13]
	v_add_f64 v[24:25], v[14:15], -v[12:13]
	s_andn2_saveexec_b64 s[2:3], s[6:7]
	s_cbranch_execz .LBB1_68
	s_branch .LBB1_67
.LBB1_66:
	s_andn2_saveexec_b64 s[2:3], s[6:7]
	s_cbranch_execz .LBB1_68
.LBB1_67:
	buffer_load_dword v14, off, s[96:99], 0 offset:480 ; 4-byte Folded Reload
	buffer_load_dword v15, off, s[96:99], 0 offset:484 ; 4-byte Folded Reload
	s_mov_b32 s6, 0x6dc9c883
	s_mov_b32 s7, 0x3fe45f30
	;; [unrolled: 1-line block ×4, first 2 shown]
	s_waitcnt vmcnt(0)
	v_mul_f64 v[10:11], |v[14:15]|, s[6:7]
	s_mov_b32 s6, 0x54442d18
	s_mov_b32 s7, 0xbff921fb
	v_rndne_f64_e32 v[12:13], v[10:11]
	v_fma_f64 v[10:11], v[12:13], s[6:7], |v[14:15]|
	v_mul_f64 v[14:15], v[12:13], s[14:15]
	s_mov_b32 s6, 0x252049c0
	s_mov_b32 s7, 0xb97b839a
	v_cvt_i32_f64_e32 v0, v[12:13]
	v_fma_f64 v[29:30], v[12:13], s[14:15], v[10:11]
	v_add_f64 v[18:19], v[10:11], v[14:15]
	s_mov_b32 s15, 0x3c91a626
	v_add_f64 v[24:25], v[10:11], -v[18:19]
	v_add_f64 v[18:19], v[18:19], -v[29:30]
	v_add_f64 v[10:11], v[24:25], v[14:15]
	v_fma_f64 v[14:15], v[12:13], s[14:15], v[14:15]
	v_add_f64 v[10:11], v[18:19], v[10:11]
	v_add_f64 v[10:11], v[10:11], -v[14:15]
	v_fma_f64 v[14:15], v[12:13], s[6:7], v[10:11]
	v_add_f64 v[10:11], v[29:30], v[14:15]
	v_add_f64 v[18:19], v[10:11], -v[29:30]
	v_add_f64 v[24:25], v[14:15], -v[18:19]
.LBB1_68:
	s_or_b64 exec, exec, s[2:3]
                                        ; implicit-def: $vgpr62
                                        ; implicit-def: $vgpr14_vgpr15
                                        ; implicit-def: $vgpr18_vgpr19
	s_and_saveexec_b64 s[2:3], s[10:11]
	s_xor_b64 s[6:7], exec, s[2:3]
	s_cbranch_execz .LBB1_70
; %bb.69:
	buffer_load_dword v16, off, s[96:99], 0 offset:24 ; 4-byte Folded Reload
	buffer_load_dword v17, off, s[96:99], 0 offset:28 ; 4-byte Folded Reload
	s_mov_b32 s2, 0
	s_mov_b32 s3, 0x7b000000
	;; [unrolled: 1-line block ×4, first 2 shown]
	s_waitcnt vmcnt(0)
	v_cmp_ge_f64_e64 vcc, |v[16:17]|, s[2:3]
	s_movk_i32 s2, 0xff80
	v_ldexp_f64 v[12:13], |v[16:17]|, s2
	v_and_b32_e32 v14, 0x7fffffff, v17
	s_mov_b32 s2, 0
	s_mov_b32 s3, 0x7ff00000
	v_cndmask_b32_e32 v15, v14, v13, vcc
	v_cndmask_b32_e32 v14, v16, v12, vcc
	v_mul_f64 v[20:21], v[31:32], v[14:15]
	v_mul_f64 v[12:13], v[33:34], v[14:15]
	v_mov_b32_e32 v16, v22
	v_mov_b32_e32 v17, v23
	v_mul_f64 v[53:54], v[16:17], v[14:15]
	v_fma_f64 v[29:30], v[31:32], v[14:15], -v[20:21]
	v_add_f64 v[31:32], v[12:13], v[29:30]
	v_add_f64 v[47:48], v[31:32], -v[12:13]
	v_add_f64 v[39:40], v[20:21], v[31:32]
	v_add_f64 v[29:30], v[29:30], -v[47:48]
	v_add_f64 v[47:48], v[31:32], -v[47:48]
	v_ldexp_f64 v[18:19], v[39:40], -2
	v_add_f64 v[47:48], v[12:13], -v[47:48]
	v_fract_f64_e32 v[43:44], v[18:19]
	v_cmp_neq_f64_e64 vcc, |v[18:19]|, s[2:3]
	v_add_f64 v[29:30], v[29:30], v[47:48]
	v_fma_f64 v[47:48], v[33:34], v[14:15], -v[12:13]
	v_add_f64 v[12:13], v[39:40], -v[20:21]
	v_fma_f64 v[14:15], v[16:17], v[14:15], -v[53:54]
	v_mov_b32_e32 v16, 0x40100000
	v_add_f64 v[51:52], v[53:54], v[47:48]
	v_add_f64 v[20:21], v[31:32], -v[12:13]
	v_add_f64 v[61:62], v[51:52], v[29:30]
	v_add_f64 v[31:32], v[61:62], -v[51:52]
	;; [unrolled: 2-line block ×3, first 2 shown]
	v_add_f64 v[31:32], v[61:62], -v[31:32]
	v_add_f64 v[20:21], v[12:13], -v[20:21]
	;; [unrolled: 1-line block ×4, first 2 shown]
	v_add_f64 v[29:30], v[29:30], v[31:32]
	v_add_f64 v[31:32], v[51:52], -v[53:54]
	v_add_f64 v[39:40], v[47:48], -v[31:32]
	v_add_f64 v[31:32], v[51:52], -v[31:32]
	v_add_f64 v[31:32], v[53:54], -v[31:32]
	v_add_f64 v[31:32], v[39:40], v[31:32]
	v_add_f64 v[29:30], v[31:32], v[29:30]
	v_mov_b32_e32 v31, v55
	v_mov_b32_e32 v32, v56
	v_add_f64 v[14:15], v[14:15], v[29:30]
	v_add_f64 v[14:15], v[20:21], v[14:15]
	v_ldexp_f64 v[20:21], v[43:44], 2
	v_cndmask_b32_e32 v19, 0, v21, vcc
	v_cndmask_b32_e32 v18, 0, v20, vcc
	v_add_f64 v[20:21], v[12:13], v[18:19]
	v_cmp_gt_f64_e32 vcc, 0, v[20:21]
	v_mov_b32_e32 v20, 0
	v_cndmask_b32_e32 v21, 0, v16, vcc
	v_add_f64 v[18:19], v[18:19], v[20:21]
	v_add_f64 v[29:30], v[12:13], v[18:19]
	v_cvt_i32_f64_e32 v16, v[29:30]
	v_cvt_f64_i32_e32 v[29:30], v16
	v_add_f64 v[18:19], v[18:19], -v[29:30]
	v_add_f64 v[29:30], v[12:13], v[18:19]
	v_add_f64 v[18:19], v[29:30], -v[18:19]
	v_cmp_le_f64_e32 vcc, 0.5, v[29:30]
	v_add_f64 v[12:13], v[12:13], -v[18:19]
	v_addc_co_u32_e64 v62, s[2:3], 0, v16, vcc
	s_mov_b32 s2, 0x54442d18
	s_mov_b32 s3, 0x3ff921fb
	v_add_f64 v[12:13], v[14:15], v[12:13]
	v_mov_b32_e32 v14, 0x3ff00000
	v_cndmask_b32_e32 v21, 0, v14, vcc
	v_add_f64 v[14:15], v[29:30], -v[20:21]
	v_add_f64 v[18:19], v[14:15], v[12:13]
	v_add_f64 v[14:15], v[18:19], -v[14:15]
	v_mul_f64 v[20:21], v[18:19], s[2:3]
	v_add_f64 v[12:13], v[12:13], -v[14:15]
	v_fma_f64 v[14:15], v[18:19], s[2:3], -v[20:21]
	v_fma_f64 v[14:15], v[18:19], s[14:15], v[14:15]
	v_fma_f64 v[12:13], v[12:13], s[2:3], v[14:15]
	v_add_f64 v[14:15], v[20:21], v[12:13]
	v_add_f64 v[18:19], v[14:15], -v[20:21]
	v_add_f64 v[18:19], v[12:13], -v[18:19]
	s_andn2_saveexec_b64 s[2:3], s[6:7]
	s_cbranch_execnz .LBB1_71
	s_branch .LBB1_72
.LBB1_70:
	s_andn2_saveexec_b64 s[2:3], s[6:7]
	s_cbranch_execz .LBB1_72
.LBB1_71:
	buffer_load_dword v14, off, s[96:99], 0 offset:24 ; 4-byte Folded Reload
	buffer_load_dword v15, off, s[96:99], 0 offset:28 ; 4-byte Folded Reload
	s_mov_b32 s6, 0x6dc9c883
	s_mov_b32 s7, 0x3fe45f30
	;; [unrolled: 1-line block ×4, first 2 shown]
	s_waitcnt vmcnt(0)
	v_mul_f64 v[12:13], |v[14:15]|, s[6:7]
	s_mov_b32 s6, 0x54442d18
	s_mov_b32 s7, 0xbff921fb
	v_rndne_f64_e32 v[12:13], v[12:13]
	v_fma_f64 v[14:15], v[12:13], s[6:7], |v[14:15]|
	v_mul_f64 v[18:19], v[12:13], s[14:15]
	s_mov_b32 s6, 0x252049c0
	s_mov_b32 s7, 0xb97b839a
	v_cvt_i32_f64_e32 v62, v[12:13]
	v_fma_f64 v[31:32], v[12:13], s[14:15], v[14:15]
	v_add_f64 v[20:21], v[14:15], v[18:19]
	s_mov_b32 s15, 0x3c91a626
	v_add_f64 v[29:30], v[14:15], -v[20:21]
	v_add_f64 v[20:21], v[20:21], -v[31:32]
	v_add_f64 v[14:15], v[29:30], v[18:19]
	v_fma_f64 v[18:19], v[12:13], s[14:15], v[18:19]
	v_add_f64 v[14:15], v[20:21], v[14:15]
	v_add_f64 v[14:15], v[14:15], -v[18:19]
	v_fma_f64 v[18:19], v[12:13], s[6:7], v[14:15]
	v_add_f64 v[14:15], v[31:32], v[18:19]
	v_add_f64 v[20:21], v[14:15], -v[31:32]
	v_mov_b32_e32 v31, v55
	v_mov_b32_e32 v32, v56
	v_add_f64 v[18:19], v[18:19], -v[20:21]
.LBB1_72:
	s_or_b64 exec, exec, s[2:3]
	s_load_dwordx2 s[2:3], s[4:5], 0x0
                                        ; implicit-def: $vgpr12
                                        ; kill: killed $vgpr12
                                        ; implicit-def: $vgpr12_vgpr13
                                        ; implicit-def: $vgpr16_vgpr17
                                        ; kill: killed $vgpr16_vgpr17
	s_waitcnt lgkmcnt(0)
	v_writelane_b32 v63, s2, 2
	v_writelane_b32 v63, s3, 3
	s_and_saveexec_b64 s[2:3], s[10:11]
	s_xor_b64 s[4:5], exec, s[2:3]
	s_cbranch_execz .LBB1_74
; %bb.73:
	buffer_load_dword v20, off, s[96:99], 0 offset:24 ; 4-byte Folded Reload
	buffer_load_dword v21, off, s[96:99], 0 offset:28 ; 4-byte Folded Reload
	s_mov_b32 s2, 0
	s_mov_b32 s3, 0x7b000000
	v_mov_b32_e32 v56, v50
	v_mov_b32_e32 v55, v49
	;; [unrolled: 1-line block ×10, first 2 shown]
	s_mov_b32 s6, 0x33145c07
	s_mov_b32 s7, 0x3c91a626
	s_waitcnt vmcnt(0)
	v_cmp_ge_f64_e64 vcc, |v[20:21]|, s[2:3]
	s_movk_i32 s2, 0xff80
	v_ldexp_f64 v[12:13], |v[20:21]|, s2
	v_and_b32_e32 v16, 0x7fffffff, v21
	s_mov_b32 s2, 0
	s_mov_b32 s3, 0x7ff00000
	v_cndmask_b32_e32 v21, v16, v13, vcc
	v_cndmask_b32_e32 v20, v20, v12, vcc
	v_mul_f64 v[29:30], v[31:32], v[20:21]
	v_mul_f64 v[12:13], v[33:34], v[20:21]
	;; [unrolled: 1-line block ×3, first 2 shown]
	v_fma_f64 v[31:32], v[31:32], v[20:21], -v[29:30]
	v_add_f64 v[39:40], v[12:13], v[31:32]
	v_add_f64 v[53:54], v[39:40], -v[12:13]
	v_add_f64 v[43:44], v[29:30], v[39:40]
	v_add_f64 v[31:32], v[31:32], -v[53:54]
	v_add_f64 v[53:54], v[39:40], -v[53:54]
	v_ldexp_f64 v[51:52], v[43:44], -2
	v_add_f64 v[53:54], v[12:13], -v[53:54]
	v_fract_f64_e32 v[47:48], v[51:52]
	v_cmp_neq_f64_e64 vcc, |v[51:52]|, s[2:3]
	v_add_f64 v[31:32], v[31:32], v[53:54]
	v_fma_f64 v[53:54], v[33:34], v[20:21], -v[12:13]
	v_add_f64 v[12:13], v[43:44], -v[29:30]
	v_add_f64 v[22:23], v[16:17], v[53:54]
	v_add_f64 v[29:30], v[39:40], -v[12:13]
	v_add_f64 v[33:34], v[22:23], v[31:32]
	v_add_f64 v[12:13], v[29:30], v[33:34]
	v_add_f64 v[39:40], v[33:34], -v[22:23]
	v_add_f64 v[29:30], v[12:13], -v[29:30]
	;; [unrolled: 1-line block ×6, first 2 shown]
	v_add_f64 v[31:32], v[31:32], v[33:34]
	v_add_f64 v[33:34], v[22:23], -v[16:17]
	v_add_f64 v[22:23], v[22:23], -v[33:34]
	;; [unrolled: 1-line block ×4, first 2 shown]
	v_fma_f64 v[16:17], v[37:38], v[20:21], -v[16:17]
	v_mov_b32_e32 v37, v41
	v_mov_b32_e32 v38, v42
	;; [unrolled: 1-line block ×6, first 2 shown]
	v_add_f64 v[22:23], v[39:40], v[22:23]
	v_mov_b32_e32 v49, v55
	v_mov_b32_e32 v50, v56
	v_add_f64 v[22:23], v[22:23], v[31:32]
	v_add_f64 v[16:17], v[16:17], v[22:23]
	;; [unrolled: 1-line block ×3, first 2 shown]
	v_ldexp_f64 v[16:17], v[47:48], 2
	v_cndmask_b32_e32 v17, 0, v17, vcc
	v_cndmask_b32_e32 v16, 0, v16, vcc
	v_add_f64 v[22:23], v[12:13], v[16:17]
	v_cmp_gt_f64_e32 vcc, 0, v[22:23]
	v_mov_b32_e32 v22, 0x40100000
	v_cndmask_b32_e32 v23, 0, v22, vcc
	v_mov_b32_e32 v22, 0
	v_add_f64 v[16:17], v[16:17], v[22:23]
	v_add_f64 v[29:30], v[12:13], v[16:17]
	v_cvt_i32_f64_e32 v23, v[29:30]
	v_cvt_f64_i32_e32 v[29:30], v23
	v_add_f64 v[16:17], v[16:17], -v[29:30]
	v_add_f64 v[29:30], v[12:13], v[16:17]
	v_add_f64 v[16:17], v[29:30], -v[16:17]
	v_cmp_le_f64_e32 vcc, 0.5, v[29:30]
	v_add_f64 v[12:13], v[12:13], -v[16:17]
	v_addc_co_u32_e64 v16, s[2:3], 0, v23, vcc
	buffer_store_dword v16, off, s[96:99], 0 offset:40 ; 4-byte Folded Spill
	v_mov_b32_e32 v16, 0x3ff00000
	v_cndmask_b32_e32 v23, 0, v16, vcc
	v_add_f64 v[16:17], v[29:30], -v[22:23]
	s_mov_b32 s2, 0x54442d18
	v_add_f64 v[12:13], v[20:21], v[12:13]
	s_mov_b32 s3, 0x3ff921fb
	v_add_f64 v[20:21], v[16:17], v[12:13]
	v_add_f64 v[16:17], v[20:21], -v[16:17]
	v_add_f64 v[12:13], v[12:13], -v[16:17]
	v_mul_f64 v[16:17], v[20:21], s[2:3]
	v_fma_f64 v[22:23], v[20:21], s[2:3], -v[16:17]
	v_fma_f64 v[20:21], v[20:21], s[6:7], v[22:23]
	v_fma_f64 v[20:21], v[12:13], s[2:3], v[20:21]
	v_add_f64 v[12:13], v[16:17], v[20:21]
	v_add_f64 v[16:17], v[12:13], -v[16:17]
	v_add_f64 v[16:17], v[20:21], -v[16:17]
	buffer_store_dword v16, off, s[96:99], 0 offset:48 ; 4-byte Folded Spill
	s_nop 0
	buffer_store_dword v17, off, s[96:99], 0 offset:52 ; 4-byte Folded Spill
.LBB1_74:
	s_or_saveexec_b64 s[2:3], s[4:5]
	v_mul_f64 v[16:17], s[12:13], s[12:13]
	buffer_store_dword v16, off, s[96:99], 0 offset:56 ; 4-byte Folded Spill
	s_nop 0
	buffer_store_dword v17, off, s[96:99], 0 offset:60 ; 4-byte Folded Spill
	s_xor_b64 exec, exec, s[2:3]
	s_cbranch_execz .LBB1_76
; %bb.75:
	buffer_load_dword v16, off, s[96:99], 0 offset:24 ; 4-byte Folded Reload
	buffer_load_dword v17, off, s[96:99], 0 offset:28 ; 4-byte Folded Reload
	s_mov_b32 s4, 0x6dc9c883
	s_mov_b32 s5, 0x3fe45f30
	s_mov_b32 s7, 0xbc91a626
	s_mov_b32 s6, 0x33145c00
	s_waitcnt vmcnt(0)
	v_mul_f64 v[12:13], |v[16:17]|, s[4:5]
	s_mov_b32 s4, 0x54442d18
	s_mov_b32 s5, 0xbff921fb
	v_rndne_f64_e32 v[20:21], v[12:13]
	v_fma_f64 v[12:13], v[20:21], s[4:5], |v[16:17]|
	v_mul_f64 v[29:30], v[20:21], s[6:7]
	s_mov_b32 s4, 0x252049c0
	s_mov_b32 s5, 0xb97b839a
	v_fma_f64 v[43:44], v[20:21], s[6:7], v[12:13]
	v_add_f64 v[31:32], v[12:13], v[29:30]
	s_mov_b32 s7, 0x3c91a626
	v_add_f64 v[39:40], v[12:13], -v[31:32]
	v_add_f64 v[31:32], v[31:32], -v[43:44]
	v_add_f64 v[12:13], v[39:40], v[29:30]
	v_fma_f64 v[29:30], v[20:21], s[6:7], v[29:30]
	v_add_f64 v[12:13], v[31:32], v[12:13]
	v_add_f64 v[12:13], v[12:13], -v[29:30]
	v_fma_f64 v[29:30], v[20:21], s[4:5], v[12:13]
	v_add_f64 v[12:13], v[43:44], v[29:30]
	v_add_f64 v[31:32], v[12:13], -v[43:44]
	v_add_f64 v[16:17], v[29:30], -v[31:32]
	buffer_store_dword v16, off, s[96:99], 0 offset:48 ; 4-byte Folded Spill
	s_nop 0
	buffer_store_dword v17, off, s[96:99], 0 offset:52 ; 4-byte Folded Spill
	v_cvt_i32_f64_e32 v16, v[20:21]
	buffer_store_dword v16, off, s[96:99], 0 offset:40 ; 4-byte Folded Spill
.LBB1_76:
	s_or_b64 exec, exec, s[2:3]
	s_load_dwordx2 s[2:3], s[8:9], 0x18
	v_mul_f64 v[51:52], v[6:7], v[6:7]
	s_mov_b32 s36, 0xf9a43bb8
	s_mov_b32 s37, 0x3de5e0b2
	;; [unrolled: 1-line block ×3, first 2 shown]
	s_waitcnt lgkmcnt(0)
	v_writelane_b32 v63, s2, 4
	v_writelane_b32 v63, s3, 5
	s_mov_b32 s2, 0x9037ab78
	s_mov_b32 s3, 0x3e21eeb6
	v_mov_b32_e32 v32, s3
	v_mov_b32_e32 v31, s2
	v_mul_f64 v[16:17], v[51:52], 0.5
	v_fma_f64 v[29:30], v[51:52], s[22:23], v[31:32]
	s_mov_b32 s2, 0xb42fdfa7
	s_mov_b32 s3, 0xbe5ae600
	;; [unrolled: 1-line block ×6, first 2 shown]
	v_add_f64 v[20:21], -v[16:17], 1.0
	v_fma_f64 v[29:30], v[51:52], v[29:30], s[24:25]
	s_mov_b32 s43, 0x3f811111
	v_mul_f64 v[33:34], v[8:9], 0.5
	s_mov_b32 s45, 0xbfc55555
	s_mov_b32 s44, s30
	buffer_load_dword v39, off, s[96:99], 0 offset:480 ; 4-byte Folded Reload
	buffer_load_dword v40, off, s[96:99], 0 offset:484 ; 4-byte Folded Reload
	s_brev_b32 s11, -2
	v_add_f64 v[22:23], -v[20:21], 1.0
	v_fma_f64 v[29:30], v[51:52], v[29:30], s[26:27]
	v_mov_b32_e32 v61, 0x7ff80000
	s_mov_b32 s6, 0
	s_brev_b32 s7, 8
	s_mov_b32 s8, 0
	s_brev_b32 s9, 8
	s_mov_b32 s19, 0x3fe55555
	v_add_f64 v[16:17], v[22:23], -v[16:17]
	v_fma_f64 v[29:30], v[51:52], v[29:30], s[28:29]
	v_mul_f64 v[22:23], v[51:52], v[51:52]
	s_mov_b32 s18, s30
	s_mov_b32 s20, 0x4222de17
	;; [unrolled: 1-line block ×5, first 2 shown]
	v_fma_f64 v[16:17], v[6:7], -v[8:9], v[16:17]
	v_fma_f64 v[29:30], v[51:52], v[29:30], s[30:31]
	s_mov_b32 s46, 0x47e6c9c2
	s_mov_b32 s47, 0x3fc110ef
	;; [unrolled: 1-line block ×7, first 2 shown]
	v_fma_f64 v[16:17], v[22:23], v[29:30], v[16:17]
	v_mul_f64 v[29:30], v[6:7], -v[51:52]
	s_mov_b32 s53, 0x3fcc71c7
	s_mov_b32 s54, 0x924920da
	;; [unrolled: 1-line block ×6, first 2 shown]
	v_add_f64 v[16:17], v[20:21], v[16:17]
	v_mov_b32_e32 v21, s3
	v_mov_b32_e32 v20, s2
	v_fma_f64 v[22:23], v[51:52], s[36:37], v[20:21]
	s_movk_i32 s2, 0x1f8
	s_mov_b32 s57, 0x3fd99999
	s_mov_b32 s60, 0x3b39803f
	;; [unrolled: 1-line block ×6, first 2 shown]
	v_fma_f64 v[22:23], v[51:52], v[22:23], s[38:39]
	s_mov_b32 s65, 0x3c8543b0
	s_movk_i32 s66, 0x204
	s_mov_b32 s16, 0
	s_mov_b32 s17, 0x7ff00000
	s_mov_b32 s69, 0x3ff71547
	s_mov_b32 s68, 0x652b82fe
	s_mov_b32 s71, 0xbfe62e42
	v_fma_f64 v[22:23], v[51:52], v[22:23], s[40:41]
	s_mov_b32 s70, s58
	s_mov_b32 s73, 0xbc7abc9e
	s_mov_b32 s72, s60
	s_mov_b32 s76, 0x6a5dcb37
	s_mov_b32 s77, 0x3e5ade15
	s_mov_b32 s78, 0x623fde64
	s_mov_b32 s79, 0x3ec71dee
	v_fma_f64 v[22:23], v[51:52], v[22:23], s[42:43]
	s_mov_b32 s80, 0x7c89e6b0
	s_mov_b32 s81, 0x3efa0199
	;; [unrolled: 8-line block ×3, first 2 shown]
	s_mov_b32 s89, s31
	s_mov_b32 s90, 0x55555511
	;; [unrolled: 1-line block ×5, first 2 shown]
	v_fma_f64 v[8:9], v[51:52], v[22:23], -v[8:9]
	s_mov_b32 s94, 0
	s_waitcnt vmcnt(0)
	v_cmp_class_f64_e64 s[4:5], v[39:40], s2
	s_mov_b32 s14, 0
	s_mov_b32 s95, 0x40900000
	;; [unrolled: 1-line block ×4, first 2 shown]
	s_movk_i32 s33, 0xff80
	v_fma_f64 v[8:9], v[29:30], s[44:45], v[8:9]
	s_mov_b32 s75, 0x7ff00000
	s_mov_b32 s67, 0x3ff4bda1
	v_add_f64 v[6:7], v[6:7], -v[8:9]
	v_and_b32_e32 v8, 1, v36
	v_cmp_eq_u32_e32 vcc, 0, v8
	v_lshlrev_b32_e32 v8, 30, v36
	v_xor_b32_e32 v8, v8, v1
	v_and_b32_e32 v8, 0x80000000, v8
	v_cndmask_b32_e32 v7, v17, v7, vcc
	v_xor_b32_e32 v7, v7, v8
	buffer_load_dword v8, off, s[96:99], 0  ; 4-byte Folded Reload
	buffer_load_dword v9, off, s[96:99], 0 offset:4 ; 4-byte Folded Reload
	v_cndmask_b32_e32 v6, v16, v6, vcc
	v_cndmask_b32_e64 v6, 0, v6, s[0:1]
	v_cndmask_b32_e64 v7, v61, v7, s[0:1]
	s_waitcnt vmcnt(0)
	v_bfi_b32 v40, s11, v40, v9
	v_mul_f64 v[8:9], v[10:11], v[10:11]
	buffer_store_dword v39, off, s[96:99], 0 offset:480 ; 4-byte Folded Spill
	s_nop 0
	buffer_store_dword v40, off, s[96:99], 0 offset:484 ; 4-byte Folded Spill
	buffer_load_dword v51, off, s[96:99], 0 offset:32 ; 4-byte Folded Reload
	buffer_load_dword v52, off, s[96:99], 0 offset:36 ; 4-byte Folded Reload
	v_mov_b32_e32 v39, 0x260
	v_mul_f64 v[16:17], v[8:9], 0.5
	v_fma_f64 v[33:34], v[8:9], s[22:23], v[31:32]
	v_add_f64 v[22:23], -v[16:17], 1.0
	v_fma_f64 v[33:34], v[8:9], v[33:34], s[24:25]
	v_add_f64 v[29:30], -v[22:23], 1.0
	v_fma_f64 v[33:34], v[8:9], v[33:34], s[26:27]
	v_add_f64 v[16:17], v[29:30], -v[16:17]
	v_fma_f64 v[33:34], v[8:9], v[33:34], s[28:29]
	v_mul_f64 v[29:30], v[8:9], v[8:9]
	v_fma_f64 v[16:17], v[10:11], -v[24:25], v[16:17]
	v_fma_f64 v[33:34], v[8:9], v[33:34], s[30:31]
	v_fma_f64 v[16:17], v[29:30], v[33:34], v[16:17]
	v_mul_f64 v[29:30], v[10:11], -v[8:9]
	v_mul_f64 v[33:34], v[24:25], 0.5
	v_add_f64 v[16:17], v[22:23], v[16:17]
	v_fma_f64 v[22:23], v[8:9], s[36:37], v[20:21]
	v_fma_f64 v[22:23], v[8:9], v[22:23], s[38:39]
	v_fma_f64 v[22:23], v[8:9], v[22:23], s[40:41]
	v_fma_f64 v[22:23], v[8:9], v[22:23], s[42:43]
	s_waitcnt vmcnt(0)
	v_mul_f64 v[43:44], v[51:52], v[51:52]
	v_fma_f64 v[22:23], v[29:30], v[22:23], v[33:34]
	v_mov_b32_e32 v56, v44
	v_mov_b32_e32 v55, v43
	v_fma_f64 v[8:9], v[8:9], v[22:23], -v[24:25]
	v_fma_f64 v[8:9], v[29:30], s[44:45], v[8:9]
	v_add_f64 v[8:9], v[10:11], -v[8:9]
	v_and_b32_e32 v10, 1, v0
	v_cmp_eq_u32_e32 vcc, 0, v10
	buffer_load_dword v10, off, s[96:99], 0 offset:56 ; 4-byte Folded Reload
	buffer_load_dword v11, off, s[96:99], 0 offset:60 ; 4-byte Folded Reload
	v_lshlrev_b32_e32 v0, 30, v0
	v_xor_b32_e32 v0, v0, v40
	v_and_b32_e32 v0, 0x80000000, v0
	buffer_load_dword v53, off, s[96:99], 0 offset:24 ; 4-byte Folded Reload
	buffer_load_dword v54, off, s[96:99], 0 offset:28 ; 4-byte Folded Reload
	v_cndmask_b32_e32 v9, v17, v9, vcc
	v_cndmask_b32_e32 v8, v16, v8, vcc
	v_xor_b32_e32 v0, v9, v0
	v_cndmask_b32_e64 v8, 0, v8, s[4:5]
	v_cndmask_b32_e64 v9, v61, v0, s[4:5]
	v_mul_f64 v[6:7], -v[6:7], v[8:9]
	v_mov_b32_e32 v0, 0x100
	s_waitcnt vmcnt(2)
	v_fma_f64 v[8:9], v[51:52], v[51:52], v[10:11]
	s_waitcnt vmcnt(0)
	v_cmp_class_f64_e64 s[2:3], v[53:54], s2
	v_cmp_gt_f64_e32 vcc, s[6:7], v[8:9]
	v_cndmask_b32_e32 v0, 0, v0, vcc
	v_ldexp_f64 v[8:9], v[8:9], v0
	v_mov_b32_e32 v0, 0xffffff80
	v_cndmask_b32_e32 v0, 0, v0, vcc
	v_rsq_f64_e32 v[16:17], v[8:9]
	v_mul_f64 v[22:23], v[8:9], v[16:17]
	v_mul_f64 v[16:17], v[16:17], 0.5
	v_fma_f64 v[24:25], -v[16:17], v[22:23], 0.5
	v_fma_f64 v[22:23], v[22:23], v[24:25], v[22:23]
	v_fma_f64 v[16:17], v[16:17], v[24:25], v[16:17]
	v_fma_f64 v[29:30], -v[22:23], v[22:23], v[8:9]
	v_fma_f64 v[22:23], v[29:30], v[16:17], v[22:23]
	v_fma_f64 v[24:25], -v[22:23], v[22:23], v[8:9]
	v_fma_f64 v[16:17], v[24:25], v[16:17], v[22:23]
	v_ldexp_f64 v[16:17], v[16:17], v0
	v_mov_b32_e32 v0, 0x260
	v_cmp_class_f64_e32 vcc, v[8:9], v0
	v_and_b32_e32 v0, 1, v62
	v_cndmask_b32_e32 v9, v17, v9, vcc
	v_cndmask_b32_e32 v8, v16, v8, vcc
	v_mul_f64 v[16:17], v[14:15], v[14:15]
	v_cmp_eq_u32_e32 vcc, 0, v0
	v_mul_f64 v[22:23], v[16:17], 0.5
	v_fma_f64 v[33:34], v[16:17], s[22:23], v[31:32]
	v_add_f64 v[24:25], -v[22:23], 1.0
	v_fma_f64 v[33:34], v[16:17], v[33:34], s[24:25]
	v_add_f64 v[29:30], -v[24:25], 1.0
	v_fma_f64 v[33:34], v[16:17], v[33:34], s[26:27]
	v_add_f64 v[22:23], v[29:30], -v[22:23]
	v_fma_f64 v[33:34], v[16:17], v[33:34], s[28:29]
	v_mul_f64 v[29:30], v[16:17], v[16:17]
	v_fma_f64 v[22:23], v[14:15], -v[18:19], v[22:23]
	v_fma_f64 v[33:34], v[16:17], v[33:34], s[30:31]
	v_fma_f64 v[22:23], v[29:30], v[33:34], v[22:23]
	v_mul_f64 v[29:30], v[14:15], -v[16:17]
	v_mul_f64 v[33:34], v[18:19], 0.5
	v_add_f64 v[22:23], v[24:25], v[22:23]
	v_fma_f64 v[24:25], v[16:17], s[36:37], v[20:21]
	v_fma_f64 v[24:25], v[16:17], v[24:25], s[38:39]
	;; [unrolled: 1-line block ×5, first 2 shown]
	v_fma_f64 v[16:17], v[16:17], v[24:25], -v[18:19]
	v_fma_f64 v[16:17], v[29:30], s[44:45], v[16:17]
	buffer_load_dword v29, off, s[96:99], 0 offset:216 ; 4-byte Folded Reload
	buffer_load_dword v30, off, s[96:99], 0 offset:220 ; 4-byte Folded Reload
	v_add_f64 v[14:15], v[14:15], -v[16:17]
	v_cndmask_b32_e32 v0, v22, v14, vcc
	v_cndmask_b32_e32 v14, v23, v15, vcc
	v_lshlrev_b32_e32 v15, 30, v62
	v_xor_b32_e32 v15, v15, v54
	v_and_b32_e32 v15, 0x80000000, v15
	v_xor_b32_e32 v15, v14, v15
	v_cndmask_b32_e64 v14, 0, v0, s[2:3]
	v_cndmask_b32_e64 v15, v61, v15, s[2:3]
	v_mul_f64 v[14:15], v[8:9], v[14:15]
	v_div_scale_f64 v[16:17], s[6:7], v[14:15], v[14:15], v[6:7]
	s_mov_b32 s6, 0x3ff00000
	v_rcp_f64_e32 v[18:19], v[16:17]
	v_fma_f64 v[22:23], -v[16:17], v[18:19], 1.0
	v_fma_f64 v[18:19], v[18:19], v[22:23], v[18:19]
	v_fma_f64 v[22:23], -v[16:17], v[18:19], 1.0
	v_fma_f64 v[18:19], v[18:19], v[22:23], v[18:19]
	v_div_scale_f64 v[22:23], vcc, v[6:7], v[14:15], v[6:7]
	v_mul_f64 v[24:25], v[22:23], v[18:19]
	v_fma_f64 v[16:17], -v[16:17], v[24:25], v[22:23]
	s_nop 1
	v_div_fmas_f64 v[16:17], v[16:17], v[18:19], v[24:25]
	v_div_fixup_f64 v[6:7], v[16:17], v[14:15], v[6:7]
	v_mul_f64 v[14:15], v[4:5], v[4:5]
	v_mul_f64 v[16:17], v[14:15], 0.5
	v_fma_f64 v[24:25], v[14:15], s[22:23], v[31:32]
	v_add_f64 v[18:19], -v[16:17], 1.0
	v_fma_f64 v[24:25], v[14:15], v[24:25], s[24:25]
	v_add_f64 v[22:23], -v[18:19], 1.0
	v_fma_f64 v[24:25], v[14:15], v[24:25], s[26:27]
	v_add_f64 v[16:17], v[22:23], -v[16:17]
	v_fma_f64 v[24:25], v[14:15], v[24:25], s[28:29]
	v_mul_f64 v[22:23], v[14:15], v[14:15]
	s_waitcnt vmcnt(0)
	v_fma_f64 v[16:17], v[4:5], -v[29:30], v[16:17]
	v_fma_f64 v[24:25], v[14:15], v[24:25], s[30:31]
	v_fma_f64 v[16:17], v[22:23], v[24:25], v[16:17]
	v_mul_f64 v[22:23], v[4:5], -v[14:15]
	v_mul_f64 v[24:25], v[29:30], 0.5
	v_add_f64 v[18:19], v[18:19], v[16:17]
	v_fma_f64 v[16:17], v[14:15], s[36:37], v[20:21]
	v_fma_f64 v[16:17], v[14:15], v[16:17], s[38:39]
	v_fma_f64 v[16:17], v[14:15], v[16:17], s[40:41]
	v_fma_f64 v[16:17], v[14:15], v[16:17], s[42:43]
	v_fma_f64 v[16:17], v[22:23], v[16:17], v[24:25]
	v_fma_f64 v[14:15], v[14:15], v[16:17], -v[29:30]
	v_fma_f64 v[14:15], v[22:23], s[44:45], v[14:15]
	v_add_f64 v[4:5], v[4:5], -v[14:15]
	buffer_load_dword v14, off, s[96:99], 0 offset:208 ; 4-byte Folded Reload
	buffer_load_dword v29, off, s[96:99], 0 offset:128 ; 4-byte Folded Reload
	;; [unrolled: 1-line block ×5, first 2 shown]
	v_xor_b32_e32 v0, 0x80000000, v5
	s_waitcnt vmcnt(4)
	v_and_b32_e32 v5, 1, v14
	v_cmp_eq_u32_e32 vcc, 0, v5
	v_lshlrev_b32_e32 v5, 30, v14
	v_cndmask_b32_e32 v0, v0, v19, vcc
	v_and_b32_e32 v5, 0x80000000, v5
	v_cndmask_b32_e32 v4, v4, v18, vcc
	v_xor_b32_e32 v0, v0, v5
	v_cndmask_b32_e64 v4, 0, v4, s[0:1]
	v_cndmask_b32_e64 v5, v61, v0, s[0:1]
	v_mul_f64 v[14:15], v[51:52], v[4:5]
	s_waitcnt vmcnt(2)
	v_mul_f64 v[4:5], v[29:30], v[29:30]
	v_mul_f64 v[16:17], v[4:5], 0.5
	v_fma_f64 v[24:25], v[4:5], s[22:23], v[31:32]
	v_add_f64 v[18:19], -v[16:17], 1.0
	v_fma_f64 v[24:25], v[4:5], v[24:25], s[24:25]
	v_add_f64 v[22:23], -v[18:19], 1.0
	v_fma_f64 v[24:25], v[4:5], v[24:25], s[26:27]
	v_add_f64 v[16:17], v[22:23], -v[16:17]
	v_fma_f64 v[24:25], v[4:5], v[24:25], s[28:29]
	v_mul_f64 v[22:23], v[4:5], v[4:5]
	s_waitcnt vmcnt(0)
	v_fma_f64 v[16:17], v[29:30], -v[33:34], v[16:17]
	v_fma_f64 v[24:25], v[4:5], v[24:25], s[30:31]
	v_fma_f64 v[16:17], v[22:23], v[24:25], v[16:17]
	v_mul_f64 v[22:23], v[29:30], -v[4:5]
	v_mul_f64 v[24:25], v[33:34], 0.5
	v_add_f64 v[16:17], v[18:19], v[16:17]
	v_fma_f64 v[18:19], v[4:5], s[36:37], v[20:21]
	v_fma_f64 v[18:19], v[4:5], v[18:19], s[38:39]
	;; [unrolled: 1-line block ×5, first 2 shown]
	v_fma_f64 v[4:5], v[4:5], v[18:19], -v[33:34]
	buffer_load_dword v18, off, s[96:99], 0 offset:120 ; 4-byte Folded Reload
	v_fma_f64 v[4:5], v[22:23], s[44:45], v[4:5]
	v_add_f64 v[4:5], v[29:30], -v[4:5]
	buffer_load_dword v29, off, s[96:99], 0 offset:192 ; 4-byte Folded Reload
	buffer_load_dword v30, off, s[96:99], 0 offset:196 ; 4-byte Folded Reload
	s_waitcnt vmcnt(2)
	v_and_b32_e32 v0, 1, v18
	v_cmp_eq_u32_e32 vcc, 0, v0
	v_cndmask_b32_e32 v0, v16, v4, vcc
	v_cndmask_b32_e32 v4, v17, v5, vcc
	v_lshlrev_b32_e32 v5, 30, v18
	v_xor_b32_e32 v1, v5, v1
	v_and_b32_e32 v1, 0x80000000, v1
	v_xor_b32_e32 v1, v4, v1
	v_mul_f64 v[4:5], v[45:46], v[45:46]
	v_cndmask_b32_e64 v0, 0, v0, s[0:1]
	v_cndmask_b32_e64 v1, v61, v1, s[0:1]
	v_mul_f64 v[16:17], v[4:5], 0.5
	v_fma_f64 v[24:25], v[4:5], s[22:23], v[31:32]
	v_add_f64 v[18:19], -v[16:17], 1.0
	v_fma_f64 v[24:25], v[4:5], v[24:25], s[24:25]
	v_add_f64 v[22:23], -v[18:19], 1.0
	v_fma_f64 v[24:25], v[4:5], v[24:25], s[26:27]
	v_add_f64 v[16:17], v[22:23], -v[16:17]
	v_fma_f64 v[24:25], v[4:5], v[24:25], s[28:29]
	v_mul_f64 v[22:23], v[4:5], v[4:5]
	s_waitcnt vmcnt(0)
	v_fma_f64 v[16:17], v[45:46], -v[29:30], v[16:17]
	v_fma_f64 v[24:25], v[4:5], v[24:25], s[30:31]
	v_fma_f64 v[16:17], v[22:23], v[24:25], v[16:17]
	v_mul_f64 v[22:23], v[45:46], -v[4:5]
	v_mul_f64 v[24:25], v[29:30], 0.5
	v_add_f64 v[16:17], v[18:19], v[16:17]
	v_fma_f64 v[18:19], v[4:5], s[36:37], v[20:21]
	v_fma_f64 v[18:19], v[4:5], v[18:19], s[38:39]
	v_fma_f64 v[18:19], v[4:5], v[18:19], s[40:41]
	v_fma_f64 v[18:19], v[4:5], v[18:19], s[42:43]
	v_fma_f64 v[18:19], v[22:23], v[18:19], v[24:25]
	v_fma_f64 v[4:5], v[4:5], v[18:19], -v[29:30]
	buffer_load_dword v19, off, s[96:99], 0 offset:176 ; 4-byte Folded Reload
	v_fma_f64 v[4:5], v[22:23], s[44:45], v[4:5]
	v_add_f64 v[4:5], v[45:46], -v[4:5]
	v_xor_b32_e32 v5, 0x80000000, v5
	s_waitcnt vmcnt(0)
	v_and_b32_e32 v18, 1, v19
	v_cmp_eq_u32_e32 vcc, 0, v18
	v_cndmask_b32_e32 v4, v4, v16, vcc
	v_lshlrev_b32_e32 v16, 30, v19
	v_cndmask_b32_e32 v5, v5, v17, vcc
	v_and_b32_e32 v16, 0x80000000, v16
	v_xor_b32_e32 v5, v5, v16
	v_cndmask_b32_e64 v4, 0, v4, s[4:5]
	v_cndmask_b32_e64 v5, v61, v5, s[4:5]
	v_mul_f64 v[4:5], -v[0:1], v[4:5]
	v_mul_f64 v[0:1], v[57:58], v[57:58]
	v_mul_f64 v[33:34], v[8:9], v[4:5]
	v_mul_f64 v[16:17], v[0:1], 0.5
	v_fma_f64 v[24:25], v[0:1], s[22:23], v[31:32]
	v_add_f64 v[18:19], -v[16:17], 1.0
	v_fma_f64 v[24:25], v[0:1], v[24:25], s[24:25]
	v_add_f64 v[22:23], -v[18:19], 1.0
	v_fma_f64 v[24:25], v[0:1], v[24:25], s[26:27]
	v_add_f64 v[16:17], v[22:23], -v[16:17]
	v_fma_f64 v[24:25], v[0:1], v[24:25], s[28:29]
	v_mul_f64 v[22:23], v[0:1], v[0:1]
	v_fma_f64 v[16:17], v[57:58], -v[59:60], v[16:17]
	v_fma_f64 v[24:25], v[0:1], v[24:25], s[30:31]
	v_fma_f64 v[16:17], v[22:23], v[24:25], v[16:17]
	v_mul_f64 v[22:23], v[57:58], -v[0:1]
	v_mul_f64 v[24:25], v[59:60], 0.5
	v_add_f64 v[16:17], v[18:19], v[16:17]
	v_fma_f64 v[18:19], v[0:1], s[36:37], v[20:21]
	v_fma_f64 v[18:19], v[0:1], v[18:19], s[38:39]
	;; [unrolled: 1-line block ×5, first 2 shown]
	v_fma_f64 v[0:1], v[0:1], v[18:19], -v[59:60]
	v_and_b32_e32 v18, 1, v35
	v_cmp_eq_u32_e32 vcc, 0, v18
	v_fma_f64 v[0:1], v[22:23], s[44:45], v[0:1]
	v_add_f64 v[0:1], v[57:58], -v[0:1]
	v_cndmask_b32_e32 v0, v16, v0, vcc
	v_lshlrev_b32_e32 v16, 30, v35
	buffer_load_dword v35, off, s[96:99], 0 offset:80 ; 4-byte Folded Reload
	buffer_load_dword v36, off, s[96:99], 0 offset:84 ; 4-byte Folded Reload
	;; [unrolled: 1-line block ×4, first 2 shown]
	v_xor_b32_e32 v16, v16, v54
	v_cndmask_b32_e32 v1, v17, v1, vcc
	v_and_b32_e32 v16, 0x80000000, v16
	v_xor_b32_e32 v1, v1, v16
	v_cndmask_b32_e64 v18, 0, v0, s[2:3]
	v_cndmask_b32_e64 v19, v61, v1, s[2:3]
	s_waitcnt vmcnt(2)
	v_mul_f64 v[0:1], v[35:36], v[35:36]
	v_mul_f64 v[16:17], v[0:1], 0.5
	v_fma_f64 v[29:30], v[0:1], s[22:23], v[31:32]
	v_add_f64 v[22:23], -v[16:17], 1.0
	v_fma_f64 v[29:30], v[0:1], v[29:30], s[24:25]
	v_add_f64 v[24:25], -v[22:23], 1.0
	v_fma_f64 v[29:30], v[0:1], v[29:30], s[26:27]
	v_add_f64 v[16:17], v[24:25], -v[16:17]
	v_fma_f64 v[29:30], v[0:1], v[29:30], s[28:29]
	v_mul_f64 v[24:25], v[0:1], v[0:1]
	s_waitcnt vmcnt(0)
	v_fma_f64 v[16:17], v[35:36], -v[45:46], v[16:17]
	v_fma_f64 v[29:30], v[0:1], v[29:30], s[30:31]
	v_fma_f64 v[16:17], v[24:25], v[29:30], v[16:17]
	v_mul_f64 v[24:25], v[35:36], -v[0:1]
	v_mul_f64 v[29:30], v[45:46], 0.5
	v_add_f64 v[16:17], v[22:23], v[16:17]
	v_fma_f64 v[22:23], v[0:1], s[36:37], v[20:21]
	v_fma_f64 v[22:23], v[0:1], v[22:23], s[38:39]
	;; [unrolled: 1-line block ×5, first 2 shown]
	v_fma_f64 v[0:1], v[0:1], v[22:23], -v[45:46]
	buffer_load_dword v23, off, s[96:99], 0 offset:72 ; 4-byte Folded Reload
	buffer_load_dword v45, off, s[96:99], 0 offset:104 ; 4-byte Folded Reload
	;; [unrolled: 1-line block ×5, first 2 shown]
	v_fma_f64 v[0:1], v[24:25], s[44:45], v[0:1]
	v_add_f64 v[0:1], v[35:36], -v[0:1]
	v_xor_b32_e32 v1, 0x80000000, v1
	s_waitcnt vmcnt(4)
	v_and_b32_e32 v22, 1, v23
	v_cmp_eq_u32_e32 vcc, 0, v22
	v_cndmask_b32_e32 v0, v0, v16, vcc
	v_lshlrev_b32_e32 v16, 30, v23
	v_cndmask_b32_e32 v1, v1, v17, vcc
	v_and_b32_e32 v16, 0x80000000, v16
	v_xor_b32_e32 v1, v1, v16
	s_waitcnt vmcnt(2)
	v_mul_f64 v[16:17], v[45:46], v[45:46]
	v_cndmask_b32_e64 v0, 0, v0, s[2:3]
	v_cndmask_b32_e64 v1, v61, v1, s[2:3]
	v_mul_f64 v[0:1], s[12:13], v[0:1]
	v_mul_f64 v[22:23], v[16:17], 0.5
	v_fma_f64 v[35:36], v[16:17], s[22:23], v[31:32]
	v_add_f64 v[24:25], -v[22:23], 1.0
	v_fma_f64 v[35:36], v[16:17], v[35:36], s[24:25]
	v_add_f64 v[29:30], -v[24:25], 1.0
	v_fma_f64 v[35:36], v[16:17], v[35:36], s[26:27]
	v_add_f64 v[22:23], v[29:30], -v[22:23]
	v_fma_f64 v[35:36], v[16:17], v[35:36], s[28:29]
	v_mul_f64 v[29:30], v[16:17], v[16:17]
	s_waitcnt vmcnt(0)
	v_fma_f64 v[22:23], v[45:46], -v[47:48], v[22:23]
	v_fma_f64 v[35:36], v[16:17], v[35:36], s[30:31]
	v_fma_f64 v[22:23], v[29:30], v[35:36], v[22:23]
	v_mul_f64 v[29:30], v[45:46], -v[16:17]
	v_mul_f64 v[35:36], v[47:48], 0.5
	v_add_f64 v[22:23], v[24:25], v[22:23]
	v_fma_f64 v[24:25], v[16:17], s[36:37], v[20:21]
	v_fma_f64 v[24:25], v[16:17], v[24:25], s[38:39]
	;; [unrolled: 1-line block ×5, first 2 shown]
	v_fma_f64 v[16:17], v[16:17], v[24:25], -v[47:48]
	buffer_load_dword v25, off, s[96:99], 0 offset:96 ; 4-byte Folded Reload
	v_fma_f64 v[16:17], v[29:30], s[44:45], v[16:17]
	v_add_f64 v[16:17], v[45:46], -v[16:17]
	v_xor_b32_e32 v17, 0x80000000, v17
	s_waitcnt vmcnt(0)
	v_and_b32_e32 v24, 1, v25
	v_cmp_eq_u32_e32 vcc, 0, v24
	v_cndmask_b32_e32 v16, v16, v22, vcc
	v_lshlrev_b32_e32 v22, 30, v25
	v_cndmask_b32_e32 v17, v17, v23, vcc
	v_and_b32_e32 v22, 0x80000000, v22
	v_xor_b32_e32 v17, v17, v22
	v_cndmask_b32_e64 v16, 0, v16, s[2:3]
	v_cndmask_b32_e64 v17, v61, v17, s[2:3]
	v_mul_f64 v[16:17], s[12:13], v[16:17]
	v_mul_f64 v[22:23], v[2:3], v[2:3]
	v_fma_f64 v[0:1], v[0:1], v[16:17], v[43:44]
	v_mul_f64 v[16:17], v[22:23], 0.5
	v_fma_f64 v[35:36], v[22:23], s[22:23], v[31:32]
	v_add_f64 v[24:25], -v[16:17], 1.0
	v_fma_f64 v[35:36], v[22:23], v[35:36], s[24:25]
	v_add_f64 v[29:30], -v[24:25], 1.0
	v_fma_f64 v[35:36], v[22:23], v[35:36], s[26:27]
	v_add_f64 v[16:17], v[29:30], -v[16:17]
	v_fma_f64 v[35:36], v[22:23], v[35:36], s[28:29]
	v_mul_f64 v[29:30], v[22:23], v[22:23]
	v_fma_f64 v[16:17], v[2:3], -v[26:27], v[16:17]
	v_fma_f64 v[35:36], v[22:23], v[35:36], s[30:31]
	v_fma_f64 v[16:17], v[29:30], v[35:36], v[16:17]
	v_mul_f64 v[29:30], v[2:3], -v[22:23]
	v_mul_f64 v[35:36], v[26:27], 0.5
	v_add_f64 v[16:17], v[24:25], v[16:17]
	v_fma_f64 v[24:25], v[22:23], s[36:37], v[20:21]
	v_fma_f64 v[24:25], v[22:23], v[24:25], s[38:39]
	v_fma_f64 v[24:25], v[22:23], v[24:25], s[40:41]
	v_fma_f64 v[24:25], v[22:23], v[24:25], s[42:43]
	v_fma_f64 v[24:25], v[29:30], v[24:25], v[35:36]
	v_fma_f64 v[22:23], v[22:23], v[24:25], -v[26:27]
	v_fma_f64 v[22:23], v[29:30], s[44:45], v[22:23]
	v_add_f64 v[2:3], v[2:3], -v[22:23]
	v_and_b32_e32 v22, 1, v28
	v_cmp_eq_u32_e32 vcc, 0, v22
	v_xor_b32_e32 v3, 0x80000000, v3
	v_cndmask_b32_e32 v2, v2, v16, vcc
	v_lshlrev_b32_e32 v16, 30, v28
	v_cndmask_b32_e32 v3, v3, v17, vcc
	v_and_b32_e32 v16, 0x80000000, v16
	v_xor_b32_e32 v3, v3, v16
	v_cndmask_b32_e64 v2, 0, v2, s[2:3]
	v_cndmask_b32_e64 v3, v61, v3, s[2:3]
	v_mul_f64 v[2:3], v[33:34], v[2:3]
	buffer_load_dword v28, off, s[96:99], 0 offset:152 ; 4-byte Folded Reload
	buffer_load_dword v29, off, s[96:99], 0 offset:156 ; 4-byte Folded Reload
	v_fma_f64 v[2:3], v[14:15], v[18:19], v[2:3]
	v_div_scale_f64 v[14:15], s[4:5], v[0:1], v[0:1], -v[2:3]
	v_rcp_f64_e32 v[16:17], v[14:15]
	v_fma_f64 v[18:19], -v[14:15], v[16:17], 1.0
	v_fma_f64 v[16:17], v[16:17], v[18:19], v[16:17]
	v_fma_f64 v[18:19], -v[14:15], v[16:17], 1.0
	v_fma_f64 v[16:17], v[16:17], v[18:19], v[16:17]
	v_div_scale_f64 v[18:19], vcc, -v[2:3], v[0:1], -v[2:3]
	v_mul_f64 v[22:23], v[18:19], v[16:17]
	v_fma_f64 v[14:15], -v[14:15], v[22:23], v[18:19]
	s_nop 1
	v_div_fmas_f64 v[14:15], v[14:15], v[16:17], v[22:23]
	v_div_fixup_f64 v[16:17], v[14:15], v[0:1], -v[2:3]
	v_mul_f64 v[14:15], v[37:38], v[37:38]
	v_mul_f64 v[2:3], v[8:9], v[8:9]
	;; [unrolled: 1-line block ×3, first 2 shown]
	v_mul_f64 v[18:19], v[14:15], 0.5
	v_fma_f64 v[26:27], v[14:15], s[22:23], v[31:32]
	v_mul_f64 v[4:5], v[8:9], v[4:5]
	v_mul_f64 v[8:9], v[49:50], v[49:50]
	v_add_f64 v[22:23], -v[18:19], 1.0
	v_fma_f64 v[26:27], v[14:15], v[26:27], s[24:25]
	v_add_f64 v[24:25], -v[22:23], 1.0
	v_fma_f64 v[26:27], v[14:15], v[26:27], s[26:27]
	v_add_f64 v[18:19], v[24:25], -v[18:19]
	v_fma_f64 v[26:27], v[14:15], v[26:27], s[28:29]
	v_mul_f64 v[24:25], v[14:15], v[14:15]
	s_waitcnt vmcnt(0)
	v_fma_f64 v[18:19], v[37:38], -v[28:29], v[18:19]
	v_fma_f64 v[26:27], v[14:15], v[26:27], s[30:31]
	v_fma_f64 v[18:19], v[24:25], v[26:27], v[18:19]
	v_mul_f64 v[24:25], v[37:38], -v[14:15]
	v_mul_f64 v[26:27], v[28:29], 0.5
	v_add_f64 v[18:19], v[22:23], v[18:19]
	v_fma_f64 v[22:23], v[14:15], s[36:37], v[20:21]
	v_fma_f64 v[22:23], v[14:15], v[22:23], s[38:39]
	;; [unrolled: 1-line block ×5, first 2 shown]
	v_fma_f64 v[14:15], v[14:15], v[22:23], -v[28:29]
	buffer_load_dword v23, off, s[96:99], 0 offset:144 ; 4-byte Folded Reload
	buffer_load_dword v28, off, s[96:99], 0 offset:168 ; 4-byte Folded Reload
	;; [unrolled: 1-line block ×3, first 2 shown]
	v_fma_f64 v[14:15], v[24:25], s[44:45], v[14:15]
	v_add_f64 v[14:15], v[37:38], -v[14:15]
	v_xor_b32_e32 v15, 0x80000000, v15
	s_waitcnt vmcnt(2)
	v_and_b32_e32 v22, 1, v23
	v_cmp_eq_u32_e32 vcc, 0, v22
	v_cndmask_b32_e32 v14, v14, v18, vcc
	v_lshlrev_b32_e32 v18, 30, v23
	v_cndmask_b32_e32 v15, v15, v19, vcc
	v_and_b32_e32 v18, 0x80000000, v18
	v_xor_b32_e32 v15, v15, v18
	v_cndmask_b32_e64 v14, 0, v14, s[0:1]
	v_cndmask_b32_e64 v15, v61, v15, s[0:1]
	v_mul_f64 v[2:3], v[2:3], v[14:15]
	v_mul_f64 v[14:15], v[41:42], v[41:42]
	v_mul_f64 v[18:19], v[14:15], 0.5
	v_fma_f64 v[26:27], v[14:15], s[22:23], v[31:32]
	v_add_f64 v[22:23], -v[18:19], 1.0
	v_fma_f64 v[26:27], v[14:15], v[26:27], s[24:25]
	v_add_f64 v[24:25], -v[22:23], 1.0
	v_fma_f64 v[26:27], v[14:15], v[26:27], s[26:27]
	v_add_f64 v[18:19], v[24:25], -v[18:19]
	v_fma_f64 v[26:27], v[14:15], v[26:27], s[28:29]
	v_mul_f64 v[24:25], v[14:15], v[14:15]
	s_waitcnt vmcnt(0)
	v_fma_f64 v[18:19], v[41:42], -v[28:29], v[18:19]
	v_fma_f64 v[26:27], v[14:15], v[26:27], s[30:31]
	v_fma_f64 v[18:19], v[24:25], v[26:27], v[18:19]
	v_mul_f64 v[24:25], v[41:42], -v[14:15]
	v_mul_f64 v[26:27], v[28:29], 0.5
	v_add_f64 v[18:19], v[22:23], v[18:19]
	v_fma_f64 v[22:23], v[14:15], s[36:37], v[20:21]
	v_fma_f64 v[22:23], v[14:15], v[22:23], s[38:39]
	;; [unrolled: 1-line block ×5, first 2 shown]
	v_fma_f64 v[14:15], v[14:15], v[22:23], -v[28:29]
	buffer_load_dword v23, off, s[96:99], 0 offset:160 ; 4-byte Folded Reload
	buffer_load_dword v26, off, s[96:99], 0 offset:200 ; 4-byte Folded Reload
	;; [unrolled: 1-line block ×3, first 2 shown]
	v_fma_f64 v[14:15], v[24:25], s[44:45], v[14:15]
	v_fma_f64 v[24:25], v[8:9], s[22:23], v[31:32]
	v_add_f64 v[14:15], v[41:42], -v[14:15]
	v_fma_f64 v[24:25], v[8:9], v[24:25], s[24:25]
	v_xor_b32_e32 v15, 0x80000000, v15
	v_fma_f64 v[24:25], v[8:9], v[24:25], s[26:27]
	v_fma_f64 v[24:25], v[8:9], v[24:25], s[28:29]
	;; [unrolled: 1-line block ×3, first 2 shown]
	s_waitcnt vmcnt(2)
	v_and_b32_e32 v22, 1, v23
	v_cmp_eq_u32_e32 vcc, 0, v22
	v_cndmask_b32_e32 v14, v14, v18, vcc
	v_lshlrev_b32_e32 v18, 30, v23
	v_cndmask_b32_e32 v15, v15, v19, vcc
	v_and_b32_e32 v18, 0x80000000, v18
	v_xor_b32_e32 v15, v15, v18
	v_cndmask_b32_e64 v14, 0, v14, s[2:3]
	v_cndmask_b32_e64 v15, v61, v15, s[2:3]
	v_mul_f64 v[2:3], v[2:3], v[14:15]
	v_mul_f64 v[14:15], v[8:9], 0.5
	v_add_f64 v[18:19], -v[14:15], 1.0
	v_add_f64 v[22:23], -v[18:19], 1.0
	v_add_f64 v[14:15], v[22:23], -v[14:15]
	v_mul_f64 v[22:23], v[8:9], v[8:9]
	s_waitcnt vmcnt(0)
	v_fma_f64 v[14:15], v[49:50], -v[26:27], v[14:15]
	v_fma_f64 v[14:15], v[22:23], v[24:25], v[14:15]
	v_mul_f64 v[22:23], v[49:50], -v[8:9]
	v_mul_f64 v[24:25], v[26:27], 0.5
	v_add_f64 v[14:15], v[18:19], v[14:15]
	v_fma_f64 v[18:19], v[8:9], s[36:37], v[20:21]
	v_fma_f64 v[18:19], v[8:9], v[18:19], s[38:39]
	;; [unrolled: 1-line block ×5, first 2 shown]
	v_fma_f64 v[8:9], v[8:9], v[18:19], -v[26:27]
	buffer_load_dword v19, off, s[96:99], 0 offset:184 ; 4-byte Folded Reload
	v_fma_f64 v[8:9], v[22:23], s[44:45], v[8:9]
	v_add_f64 v[8:9], v[49:50], -v[8:9]
	v_mov_b32_e32 v49, 0x7ff00000
	v_mov_b32_e32 v50, 0x3ff00000
	s_waitcnt vmcnt(0)
	v_and_b32_e32 v18, 1, v19
	v_cmp_eq_u32_e32 vcc, 0, v18
	v_cndmask_b32_e32 v8, v14, v8, vcc
	v_lshlrev_b32_e32 v14, 30, v19
	v_xor_b32_e32 v14, v14, v54
	v_cndmask_b32_e32 v9, v15, v9, vcc
	v_and_b32_e32 v14, 0x80000000, v14
	v_xor_b32_e32 v9, v9, v14
	v_cndmask_b32_e64 v8, 0, v8, s[2:3]
	v_cndmask_b32_e64 v9, v61, v9, s[2:3]
	v_fma_f64 v[2:3], v[4:5], v[8:9], -v[2:3]
	v_div_scale_f64 v[4:5], s[0:1], v[0:1], v[0:1], -v[2:3]
	v_rcp_f64_e32 v[8:9], v[4:5]
	v_fma_f64 v[14:15], -v[4:5], v[8:9], 1.0
	v_fma_f64 v[8:9], v[8:9], v[14:15], v[8:9]
	v_fma_f64 v[14:15], -v[4:5], v[8:9], 1.0
	v_fma_f64 v[8:9], v[8:9], v[14:15], v[8:9]
	v_div_scale_f64 v[14:15], vcc, -v[2:3], v[0:1], -v[2:3]
	v_mul_f64 v[18:19], v[14:15], v[8:9]
	v_fma_f64 v[4:5], -v[4:5], v[18:19], v[14:15]
	s_nop 1
	v_div_fmas_f64 v[4:5], v[4:5], v[8:9], v[18:19]
	v_add_f64 v[8:9], -v[10:11], 1.0
	v_cmp_gt_f64_e32 vcc, s[8:9], v[8:9]
	v_div_fixup_f64 v[22:23], v[4:5], v[0:1], -v[2:3]
	s_and_b64 s[0:1], vcc, exec
	s_cselect_b32 s0, 0x100, 0
	v_ldexp_f64 v[2:3], v[8:9], s0
	s_cselect_b32 s0, 0xffffff80, 0
	v_rsq_f64_e32 v[4:5], v[2:3]
	v_cmp_class_f64_e32 vcc, v[2:3], v39
	v_mul_f64 v[14:15], v[2:3], v[4:5]
	v_mul_f64 v[4:5], v[4:5], 0.5
	v_fma_f64 v[18:19], -v[4:5], v[14:15], 0.5
	v_fma_f64 v[14:15], v[14:15], v[18:19], v[14:15]
	v_fma_f64 v[4:5], v[4:5], v[18:19], v[4:5]
	v_fma_f64 v[24:25], -v[14:15], v[14:15], v[2:3]
	v_fma_f64 v[14:15], v[24:25], v[4:5], v[14:15]
	v_fma_f64 v[18:19], -v[14:15], v[14:15], v[2:3]
	v_fma_f64 v[4:5], v[18:19], v[4:5], v[14:15]
	v_ldexp_f64 v[4:5], v[4:5], s0
	s_mov_b32 s0, 0x88e368f1
	s_mov_b32 s1, 0x3ee4f8b5
	v_cndmask_b32_e32 v3, v5, v3, vcc
	v_cndmask_b32_e32 v2, v4, v2, vcc
	v_add_f64 v[2:3], v[2:3], 1.0
	v_cmp_eq_f64_e32 vcc, 1.0, v[8:9]
	v_add_f64 v[2:3], v[2:3], s[0:1]
	buffer_store_dword v2, off, s[96:99], 0 offset:496 ; 4-byte Folded Spill
	s_nop 0
	buffer_store_dword v3, off, s[96:99], 0 offset:500 ; 4-byte Folded Spill
	v_frexp_mant_f64_e64 v[3:4], |v[8:9]|
	s_and_b64 s[0:1], vcc, exec
	v_frexp_exp_i32_f64_e32 v2, v[8:9]
	s_mov_b32 s0, 0x968915a9
	s_mov_b32 s1, 0x3fba6564
	s_cselect_b32 s5, s6, 0x3fd55555
	s_cselect_b32 s4, 0, 0x55555555
	v_cmp_gt_f64_e32 vcc, s[18:19], v[3:4]
	v_cndmask_b32_e64 v5, 0, 1, vcc
	v_ldexp_f64 v[14:15], v[3:4], v5
	v_subbrev_co_u32_e32 v4, vcc, 0, v2, vcc
	v_cvt_f64_i32_e32 v[4:5], v4
	v_add_f64 v[18:19], v[14:15], 1.0
	v_add_f64 v[2:3], v[14:15], -1.0
	v_add_f64 v[24:25], v[18:19], -1.0
	v_add_f64 v[14:15], v[14:15], -v[24:25]
	v_rcp_f64_e32 v[24:25], v[18:19]
	v_fma_f64 v[26:27], -v[18:19], v[24:25], 1.0
	v_fma_f64 v[24:25], v[26:27], v[24:25], v[24:25]
	v_fma_f64 v[26:27], -v[18:19], v[24:25], 1.0
	v_fma_f64 v[24:25], v[26:27], v[24:25], v[24:25]
	v_mul_f64 v[26:27], v[2:3], v[24:25]
	v_mul_f64 v[28:29], v[18:19], v[26:27]
	v_fma_f64 v[18:19], v[26:27], v[18:19], -v[28:29]
	v_fma_f64 v[14:15], v[26:27], v[14:15], v[18:19]
	v_add_f64 v[18:19], v[28:29], v[14:15]
	v_add_f64 v[33:34], v[2:3], -v[18:19]
	v_add_f64 v[28:29], v[18:19], -v[28:29]
	;; [unrolled: 1-line block ×5, first 2 shown]
	v_add_f64 v[2:3], v[14:15], v[2:3]
	v_add_f64 v[2:3], v[33:34], v[2:3]
	v_mul_f64 v[2:3], v[24:25], v[2:3]
	v_add_f64 v[28:29], v[26:27], v[2:3]
	v_add_f64 v[14:15], v[28:29], -v[26:27]
	v_mul_f64 v[26:27], v[4:5], s[58:59]
	v_ldexp_f64 v[33:34], v[28:29], 1
	v_add_f64 v[35:36], v[2:3], -v[14:15]
	v_mul_f64 v[2:3], v[28:29], v[28:29]
	v_add_f64 v[18:19], v[35:36], v[35:36]
	v_fma_f64 v[14:15], v[28:29], v[28:29], -v[2:3]
	v_fma_f64 v[18:19], v[28:29], v[18:19], v[14:15]
	v_add_f64 v[14:15], v[2:3], v[18:19]
	v_add_f64 v[2:3], v[14:15], -v[2:3]
	v_mul_f64 v[41:42], v[28:29], v[14:15]
	v_add_f64 v[18:19], v[18:19], -v[2:3]
	v_mov_b32_e32 v3, s1
	v_mov_b32_e32 v2, s0
	v_fma_f64 v[24:25], v[14:15], s[20:21], v[2:3]
	v_fma_f64 v[37:38], v[14:15], v[28:29], -v[41:42]
	s_mov_b32 s1, 0x3ff71547
	v_writelane_b32 v63, s0, 6
	v_writelane_b32 v63, s1, 7
	s_mov_b32 s0, 0xfca7ab0c
	s_mov_b32 s1, 0x3e928af3
	v_fma_f64 v[24:25], v[14:15], v[24:25], s[34:35]
	v_fma_f64 v[24:25], v[14:15], v[24:25], s[46:47]
	;; [unrolled: 1-line block ×7, first 2 shown]
	v_fma_f64 v[24:25], v[4:5], s[58:59], -v[26:27]
	v_fma_f64 v[4:5], v[4:5], s[60:61], v[24:25]
	v_add_f64 v[24:25], v[26:27], v[4:5]
	v_add_f64 v[26:27], v[24:25], -v[26:27]
	v_add_f64 v[4:5], v[4:5], -v[26:27]
	v_ldexp_f64 v[26:27], v[35:36], 1
	v_fma_f64 v[35:36], v[14:15], v[35:36], v[37:38]
	v_fma_f64 v[28:29], v[18:19], v[28:29], v[35:36]
	v_add_f64 v[37:38], v[41:42], v[28:29]
	v_add_f64 v[35:36], v[37:38], -v[41:42]
	v_add_f64 v[35:36], v[28:29], -v[35:36]
	v_mul_f64 v[28:29], v[14:15], v[39:40]
	v_fma_f64 v[14:15], v[14:15], v[39:40], -v[28:29]
	v_fma_f64 v[14:15], v[18:19], v[39:40], v[14:15]
	v_add_f64 v[18:19], v[28:29], v[14:15]
	v_add_f64 v[28:29], v[18:19], -v[28:29]
	v_add_f64 v[14:15], v[14:15], -v[28:29]
	v_add_f64 v[28:29], v[18:19], s[18:19]
	v_add_f64 v[14:15], v[14:15], s[64:65]
	;; [unrolled: 1-line block ×3, first 2 shown]
	v_add_f64 v[18:19], v[18:19], -v[39:40]
	v_add_f64 v[14:15], v[14:15], v[18:19]
	v_add_f64 v[18:19], v[28:29], v[14:15]
	v_add_f64 v[28:29], v[28:29], -v[18:19]
	v_add_f64 v[14:15], v[14:15], v[28:29]
	v_mul_f64 v[28:29], v[37:38], v[18:19]
	v_fma_f64 v[39:40], v[37:38], v[18:19], -v[28:29]
	v_fma_f64 v[14:15], v[37:38], v[14:15], v[39:40]
	v_fma_f64 v[14:15], v[35:36], v[18:19], v[14:15]
	v_add_f64 v[18:19], v[28:29], v[14:15]
	v_add_f64 v[28:29], v[18:19], -v[28:29]
	v_add_f64 v[14:15], v[14:15], -v[28:29]
	v_add_f64 v[28:29], v[33:34], v[18:19]
	v_add_f64 v[14:15], v[26:27], v[14:15]
	v_add_f64 v[33:34], v[28:29], -v[33:34]
	v_add_f64 v[18:19], v[18:19], -v[33:34]
	v_add_f64 v[14:15], v[14:15], v[18:19]
	;; [unrolled: 4-line block ×3, first 2 shown]
	v_add_f64 v[28:29], v[26:27], -v[24:25]
	v_add_f64 v[33:34], v[26:27], -v[28:29]
	;; [unrolled: 1-line block ×4, first 2 shown]
	v_add_f64 v[18:19], v[18:19], v[24:25]
	v_add_f64 v[24:25], v[4:5], v[14:15]
	v_add_f64 v[28:29], v[24:25], -v[4:5]
	v_add_f64 v[33:34], v[24:25], -v[28:29]
	;; [unrolled: 1-line block ×4, first 2 shown]
	v_add_f64 v[4:5], v[14:15], v[4:5]
	v_add_f64 v[14:15], v[24:25], v[18:19]
	;; [unrolled: 1-line block ×3, first 2 shown]
	v_add_f64 v[24:25], v[18:19], -v[26:27]
	v_add_f64 v[14:15], v[14:15], -v[24:25]
	v_add_f64 v[4:5], v[4:5], v[14:15]
	v_add_f64 v[14:15], v[18:19], v[4:5]
	v_add_f64 v[18:19], v[14:15], -v[18:19]
	v_add_f64 v[4:5], v[4:5], -v[18:19]
	v_mul_f64 v[18:19], s[4:5], v[14:15]
	v_fma_f64 v[14:15], s[4:5], v[14:15], -v[18:19]
	v_cmp_class_f64_e64 vcc, v[18:19], s66
	v_fma_f64 v[4:5], s[4:5], v[4:5], v[14:15]
	v_add_f64 v[14:15], v[18:19], v[4:5]
	v_add_f64 v[24:25], v[14:15], -v[18:19]
	v_cndmask_b32_e32 v15, v15, v19, vcc
	v_cndmask_b32_e32 v14, v14, v18, vcc
	v_cmp_neq_f64_e64 vcc, |v[14:15]|, s[16:17]
	v_add_f64 v[4:5], v[4:5], -v[24:25]
	v_cndmask_b32_e32 v19, 0, v5, vcc
	v_cndmask_b32_e32 v18, 0, v4, vcc
	v_mul_f64 v[4:5], v[14:15], s[68:69]
	v_cmp_nlt_f64_e32 vcc, s[94:95], v[14:15]
	v_rndne_f64_e32 v[24:25], v[4:5]
	v_fma_f64 v[4:5], v[24:25], s[70:71], v[14:15]
	v_fma_f64 v[26:27], v[24:25], s[72:73], v[4:5]
	v_mov_b32_e32 v5, s1
	v_mov_b32_e32 v4, s0
	v_cvt_i32_f64_e32 v24, v[24:25]
	v_cmp_ngt_f64_e64 s[0:1], s[14:15], v[14:15]
	v_fma_f64 v[28:29], v[26:27], s[76:77], v[4:5]
	v_fma_f64 v[28:29], v[26:27], v[28:29], s[78:79]
	;; [unrolled: 1-line block ×9, first 2 shown]
	v_fma_f64 v[28:29], v[26:27], v[28:29], 1.0
	v_fma_f64 v[26:27], v[26:27], v[28:29], 1.0
	v_ldexp_f64 v[24:25], v[26:27], v24
	v_cndmask_b32_e32 v25, v49, v25, vcc
	s_and_b64 vcc, s[0:1], vcc
	v_cndmask_b32_e32 v14, 0, v24, vcc
	v_cndmask_b32_e64 v15, 0, v25, s[0:1]
	v_fma_f64 v[18:19], v[14:15], v[18:19], v[14:15]
	v_cmp_class_f64_e64 vcc, v[14:15], s66
	v_cndmask_b32_e32 v14, v18, v14, vcc
	v_cndmask_b32_e32 v15, v19, v15, vcc
	v_trunc_f64_e32 v[18:19], s[4:5]
	v_cmp_eq_f64_e32 vcc, s[4:5], v[18:19]
	v_mul_f64 v[18:19], s[4:5], 0.5
	v_cmp_gt_f64_e64 s[4:5], 0, v[8:9]
	v_trunc_f64_e32 v[24:25], v[18:19]
	v_cmp_neq_f64_e64 s[0:1], v[24:25], v[18:19]
	v_cndmask_b32_e32 v25, 0, v14, vcc
	v_cndmask_b32_e64 v14, v14, v25, s[4:5]
	s_and_b64 s[0:1], vcc, s[0:1]
	v_cndmask_b32_e64 v18, v50, v9, s[0:1]
	v_bfi_b32 v15, s11, v15, v18
	v_cndmask_b32_e32 v24, v61, v15, vcc
	v_cndmask_b32_e64 v15, v15, v24, s[4:5]
	v_cmp_class_f64_e64 s[4:5], v[8:9], s66
	v_cmp_eq_f64_e32 vcc, 0, v[8:9]
	v_cndmask_b32_e64 v24, 0, v9, s[0:1]
	v_mov_b32_e32 v18, 0
	v_mov_b32_e32 v19, 0
	s_or_b64 s[4:5], vcc, s[4:5]
	s_and_b64 s[8:9], vcc, exec
	v_cmp_o_f64_e32 vcc, v[8:9], v[8:9]
	s_cselect_b32 s7, 0, 0x7ff00000
	v_mov_b32_e32 v25, s7
	v_bfi_b32 v24, s11, v25, v24
	v_cndmask_b32_e64 v15, v15, v24, s[4:5]
	v_cndmask_b32_e64 v14, v14, 0, s[4:5]
	v_cndmask_b32_e32 v8, 0, v14, vcc
	v_cndmask_b32_e32 v9, v61, v15, vcc
	v_add_f64 v[14:15], s[12:13], 1.0
	v_cmp_eq_f64_e32 vcc, 1.0, v[14:15]
	v_frexp_mant_f64_e64 v[24:25], |v[14:15]|
	v_frexp_exp_i32_f64_e32 v26, v[14:15]
	s_and_b64 s[0:1], vcc, exec
	v_cmp_gt_f64_e32 vcc, s[18:19], v[24:25]
	s_cselect_b32 s5, s6, 0x3fd55555
	s_cselect_b32 s4, 0, 0x55555555
	v_cndmask_b32_e64 v27, 0, 1, vcc
	v_ldexp_f64 v[24:25], v[24:25], v27
	v_subbrev_co_u32_e32 v30, vcc, 0, v26, vcc
	v_add_f64 v[28:29], v[24:25], 1.0
	v_add_f64 v[26:27], v[24:25], -1.0
	v_add_f64 v[33:34], v[28:29], -1.0
	v_add_f64 v[24:25], v[24:25], -v[33:34]
	v_rcp_f64_e32 v[33:34], v[28:29]
	v_fma_f64 v[35:36], -v[28:29], v[33:34], 1.0
	v_fma_f64 v[33:34], v[35:36], v[33:34], v[33:34]
	v_fma_f64 v[35:36], -v[28:29], v[33:34], 1.0
	v_fma_f64 v[33:34], v[35:36], v[33:34], v[33:34]
	v_mul_f64 v[35:36], v[26:27], v[33:34]
	v_mul_f64 v[37:38], v[28:29], v[35:36]
	v_fma_f64 v[28:29], v[35:36], v[28:29], -v[37:38]
	v_fma_f64 v[24:25], v[35:36], v[24:25], v[28:29]
	v_add_f64 v[28:29], v[37:38], v[24:25]
	v_add_f64 v[39:40], v[26:27], -v[28:29]
	v_add_f64 v[37:38], v[28:29], -v[37:38]
	;; [unrolled: 1-line block ×5, first 2 shown]
	v_add_f64 v[24:25], v[24:25], v[26:27]
	v_add_f64 v[24:25], v[39:40], v[24:25]
	v_mul_f64 v[24:25], v[33:34], v[24:25]
	v_add_f64 v[28:29], v[35:36], v[24:25]
	v_add_f64 v[26:27], v[28:29], -v[35:36]
	v_add_f64 v[33:34], v[24:25], -v[26:27]
	v_mul_f64 v[24:25], v[28:29], v[28:29]
	v_add_f64 v[35:36], v[33:34], v[33:34]
	v_fma_f64 v[26:27], v[28:29], v[28:29], -v[24:25]
	v_ldexp_f64 v[43:44], v[33:34], 1
	v_fma_f64 v[26:27], v[28:29], v[35:36], v[26:27]
	v_add_f64 v[35:36], v[24:25], v[26:27]
	v_add_f64 v[24:25], v[35:36], -v[24:25]
	v_mul_f64 v[45:46], v[28:29], v[35:36]
	v_add_f64 v[37:38], v[26:27], -v[24:25]
	v_fma_f64 v[24:25], v[35:36], s[20:21], v[2:3]
	v_fma_f64 v[47:48], v[35:36], v[28:29], -v[45:46]
	v_fma_f64 v[24:25], v[35:36], v[24:25], s[34:35]
	v_fma_f64 v[33:34], v[35:36], v[33:34], v[47:48]
	;; [unrolled: 1-line block ×8, first 2 shown]
	v_cvt_f64_i32_e32 v[24:25], v30
	v_mul_f64 v[41:42], v[24:25], s[58:59]
	v_fma_f64 v[26:27], v[24:25], s[58:59], -v[41:42]
	v_fma_f64 v[24:25], v[24:25], s[60:61], v[26:27]
	v_add_f64 v[26:27], v[41:42], v[24:25]
	v_add_f64 v[41:42], v[26:27], -v[41:42]
	v_add_f64 v[24:25], v[24:25], -v[41:42]
	v_ldexp_f64 v[41:42], v[28:29], 1
	v_fma_f64 v[28:29], v[37:38], v[28:29], v[33:34]
	v_add_f64 v[33:34], v[45:46], v[28:29]
	v_add_f64 v[45:46], v[33:34], -v[45:46]
	v_add_f64 v[28:29], v[28:29], -v[45:46]
	v_mul_f64 v[45:46], v[35:36], v[39:40]
	v_fma_f64 v[35:36], v[35:36], v[39:40], -v[45:46]
	v_fma_f64 v[35:36], v[37:38], v[39:40], v[35:36]
	v_add_f64 v[37:38], v[45:46], v[35:36]
	v_add_f64 v[39:40], v[37:38], -v[45:46]
	v_add_f64 v[35:36], v[35:36], -v[39:40]
	v_add_f64 v[39:40], v[37:38], s[18:19]
	v_add_f64 v[35:36], v[35:36], s[64:65]
	;; [unrolled: 1-line block ×3, first 2 shown]
	v_add_f64 v[37:38], v[37:38], -v[45:46]
	v_add_f64 v[35:36], v[35:36], v[37:38]
	v_add_f64 v[37:38], v[39:40], v[35:36]
	v_add_f64 v[39:40], v[39:40], -v[37:38]
	v_add_f64 v[35:36], v[35:36], v[39:40]
	v_mul_f64 v[39:40], v[33:34], v[37:38]
	v_fma_f64 v[45:46], v[33:34], v[37:38], -v[39:40]
	v_fma_f64 v[33:34], v[33:34], v[35:36], v[45:46]
	v_fma_f64 v[28:29], v[28:29], v[37:38], v[33:34]
	v_add_f64 v[33:34], v[39:40], v[28:29]
	v_add_f64 v[35:36], v[33:34], -v[39:40]
	v_add_f64 v[28:29], v[28:29], -v[35:36]
	v_add_f64 v[35:36], v[41:42], v[33:34]
	v_add_f64 v[28:29], v[43:44], v[28:29]
	v_add_f64 v[37:38], v[35:36], -v[41:42]
	v_add_f64 v[33:34], v[33:34], -v[37:38]
	v_add_f64 v[28:29], v[28:29], v[33:34]
	;; [unrolled: 4-line block ×3, first 2 shown]
	v_add_f64 v[37:38], v[35:36], -v[26:27]
	v_add_f64 v[39:40], v[35:36], -v[37:38]
	;; [unrolled: 1-line block ×4, first 2 shown]
	v_add_f64 v[26:27], v[33:34], v[26:27]
	v_add_f64 v[33:34], v[24:25], v[28:29]
	v_add_f64 v[37:38], v[33:34], -v[24:25]
	v_add_f64 v[26:27], v[33:34], v[26:27]
	v_add_f64 v[39:40], v[33:34], -v[37:38]
	v_add_f64 v[28:29], v[28:29], -v[37:38]
	;; [unrolled: 1-line block ×3, first 2 shown]
	v_add_f64 v[24:25], v[28:29], v[24:25]
	v_add_f64 v[28:29], v[35:36], v[26:27]
	v_add_f64 v[33:34], v[28:29], -v[35:36]
	v_add_f64 v[26:27], v[26:27], -v[33:34]
	v_add_f64 v[24:25], v[24:25], v[26:27]
	v_add_f64 v[26:27], v[28:29], v[24:25]
	v_add_f64 v[28:29], v[26:27], -v[28:29]
	v_add_f64 v[24:25], v[24:25], -v[28:29]
	v_mul_f64 v[28:29], s[4:5], v[26:27]
	v_fma_f64 v[26:27], s[4:5], v[26:27], -v[28:29]
	v_cmp_class_f64_e64 vcc, v[28:29], s66
	v_fma_f64 v[24:25], s[4:5], v[24:25], v[26:27]
	v_add_f64 v[26:27], v[28:29], v[24:25]
	v_add_f64 v[33:34], v[26:27], -v[28:29]
	v_cndmask_b32_e32 v27, v27, v29, vcc
	v_cndmask_b32_e32 v26, v26, v28, vcc
	v_mul_f64 v[28:29], v[26:27], s[68:69]
	v_cmp_neq_f64_e64 vcc, |v[26:27]|, s[16:17]
	v_cmp_ngt_f64_e64 s[0:1], s[14:15], v[26:27]
	v_add_f64 v[24:25], v[24:25], -v[33:34]
	v_rndne_f64_e32 v[28:29], v[28:29]
	v_cndmask_b32_e32 v25, 0, v25, vcc
	v_cndmask_b32_e32 v24, 0, v24, vcc
	v_cmp_nlt_f64_e32 vcc, s[94:95], v[26:27]
	v_fma_f64 v[33:34], v[28:29], s[70:71], v[26:27]
	s_and_b64 s[8:9], s[0:1], vcc
	v_fma_f64 v[33:34], v[28:29], s[72:73], v[33:34]
	v_cvt_i32_f64_e32 v28, v[28:29]
	s_and_b64 s[8:9], s[8:9], exec
	v_fma_f64 v[35:36], v[33:34], s[76:77], v[4:5]
	v_fma_f64 v[35:36], v[33:34], v[35:36], s[78:79]
	;; [unrolled: 1-line block ×9, first 2 shown]
	v_fma_f64 v[35:36], v[33:34], v[35:36], 1.0
	v_fma_f64 v[33:34], v[33:34], v[35:36], 1.0
	v_ldexp_f64 v[28:29], v[33:34], v28
	v_readfirstlane_b32 s7, v28
	v_cndmask_b32_e32 v29, v49, v29, vcc
	s_cselect_b32 s7, s7, 0
	v_cndmask_b32_e64 v27, 0, v29, s[0:1]
	v_mov_b32_e32 v26, s7
	v_fma_f64 v[24:25], v[26:27], v[24:25], v[26:27]
	v_cmp_class_f64_e64 vcc, v[26:27], s66
	v_readfirstlane_b32 s8, v24
	v_cndmask_b32_e32 v28, v25, v27, vcc
	v_trunc_f64_e32 v[24:25], s[4:5]
	s_and_b64 s[0:1], vcc, exec
	s_cselect_b32 s7, s7, s8
	v_cmp_eq_f64_e32 vcc, s[4:5], v[24:25]
	v_mul_f64 v[24:25], s[4:5], 0.5
	v_cmp_gt_f64_e64 s[4:5], 0, v[14:15]
	v_trunc_f64_e32 v[26:27], v[24:25]
	v_cmp_neq_f64_e64 s[0:1], v[26:27], v[24:25]
	s_and_b64 s[0:1], vcc, s[0:1]
	v_cndmask_b32_e64 v24, v50, v15, s[0:1]
	v_bfi_b32 v24, s11, v28, v24
	v_cndmask_b32_e32 v25, v61, v24, vcc
	s_and_b64 s[8:9], vcc, exec
	s_cselect_b32 s10, s7, 0
	s_and_b64 s[8:9], s[4:5], exec
	v_cndmask_b32_e64 v24, v24, v25, s[4:5]
	v_cmp_class_f64_e64 s[4:5], v[14:15], s66
	v_cmp_eq_f64_e32 vcc, 0, v[14:15]
	s_cselect_b32 s7, s10, s7
	v_cndmask_b32_e64 v25, 0, v15, s[0:1]
	s_or_b64 s[4:5], vcc, s[4:5]
	s_and_b64 s[8:9], vcc, exec
	v_cmp_o_f64_e32 vcc, v[14:15], v[14:15]
	s_cselect_b32 s8, 0, 0x7ff00000
	v_mov_b32_e32 v26, s8
	v_bfi_b32 v25, s11, v26, v25
	s_and_b64 s[0:1], s[4:5], exec
	v_cndmask_b32_e64 v24, v24, v25, s[4:5]
	s_cselect_b32 s4, 0, s7
	s_and_b64 s[0:1], vcc, exec
	s_cselect_b32 s0, s4, 0
	v_cndmask_b32_e32 v15, v61, v24, vcc
	v_mov_b32_e32 v14, s0
	v_fma_f64 v[8:9], v[14:15], v[8:9], 1.0
	v_add_f64 v[14:15], -s[12:13], 1.0
	v_cmp_eq_f64_e32 vcc, 1.0, v[14:15]
	v_frexp_mant_f64_e64 v[24:25], |v[14:15]|
	v_frexp_exp_i32_f64_e32 v26, v[14:15]
	s_and_b64 s[0:1], vcc, exec
	v_cmp_gt_f64_e32 vcc, s[18:19], v[24:25]
	s_cselect_b32 s5, s6, 0x3fd55555
	s_cselect_b32 s4, 0, 0x55555555
	s_mov_b32 s1, s63
	v_writelane_b32 v63, s0, 8
	v_writelane_b32 v63, s1, 9
	;; [unrolled: 1-line block ×4, first 2 shown]
	v_cndmask_b32_e64 v27, 0, 1, vcc
	v_ldexp_f64 v[24:25], v[24:25], v27
	v_subbrev_co_u32_e32 v30, vcc, 0, v26, vcc
	s_mov_b32 s1, s71
	v_writelane_b32 v63, s0, 12
	v_writelane_b32 v63, s1, 13
	s_mov_b32 s1, s73
	v_writelane_b32 v63, s0, 14
	v_add_f64 v[28:29], v[24:25], 1.0
	v_add_f64 v[26:27], v[24:25], -1.0
	v_writelane_b32 v63, s1, 15
	s_mov_b32 s0, s86
	v_writelane_b32 v63, s0, 16
	v_writelane_b32 v63, s1, 17
	s_mov_b32 s0, s88
	v_writelane_b32 v63, s0, 18
	v_add_f64 v[33:34], v[28:29], -1.0
	v_writelane_b32 v63, s1, 19
	v_add_f64 v[24:25], v[24:25], -v[33:34]
	v_rcp_f64_e32 v[33:34], v[28:29]
	v_fma_f64 v[35:36], -v[28:29], v[33:34], 1.0
	v_fma_f64 v[33:34], v[35:36], v[33:34], v[33:34]
	v_fma_f64 v[35:36], -v[28:29], v[33:34], 1.0
	v_fma_f64 v[33:34], v[35:36], v[33:34], v[33:34]
	v_mul_f64 v[35:36], v[26:27], v[33:34]
	v_mul_f64 v[37:38], v[28:29], v[35:36]
	v_fma_f64 v[28:29], v[35:36], v[28:29], -v[37:38]
	v_fma_f64 v[24:25], v[35:36], v[24:25], v[28:29]
	v_add_f64 v[28:29], v[37:38], v[24:25]
	v_add_f64 v[39:40], v[26:27], -v[28:29]
	v_add_f64 v[37:38], v[28:29], -v[37:38]
	;; [unrolled: 1-line block ×5, first 2 shown]
	v_add_f64 v[24:25], v[24:25], v[26:27]
	v_add_f64 v[24:25], v[39:40], v[24:25]
	v_mul_f64 v[24:25], v[33:34], v[24:25]
	v_add_f64 v[28:29], v[35:36], v[24:25]
	v_add_f64 v[26:27], v[28:29], -v[35:36]
	v_add_f64 v[35:36], v[24:25], -v[26:27]
	v_mul_f64 v[24:25], v[28:29], v[28:29]
	v_add_f64 v[33:34], v[35:36], v[35:36]
	v_fma_f64 v[26:27], v[28:29], v[28:29], -v[24:25]
	v_fma_f64 v[26:27], v[28:29], v[33:34], v[26:27]
	v_ldexp_f64 v[33:34], v[28:29], 1
	v_add_f64 v[37:38], v[24:25], v[26:27]
	v_fma_f64 v[2:3], v[37:38], s[20:21], v[2:3]
	v_add_f64 v[24:25], v[37:38], -v[24:25]
	v_mul_f64 v[43:44], v[28:29], v[37:38]
	s_mov_b32 s20, 0x92492492
	s_mov_b32 s21, 0xbf93c924
	v_fma_f64 v[2:3], v[37:38], v[2:3], s[34:35]
	v_add_f64 v[39:40], v[26:27], -v[24:25]
	v_fma_f64 v[45:46], v[37:38], v[28:29], -v[43:44]
	s_mov_b32 s34, 0x2ed5a580
	s_mov_b32 s35, 0x3fa40534
	v_fma_f64 v[2:3], v[37:38], v[2:3], s[46:47]
	s_mov_b32 s46, 0x8676f310
	s_mov_b32 s47, 0xbfa17cc4
	v_fma_f64 v[2:3], v[37:38], v[2:3], s[48:49]
	;; [unrolled: 3-line block ×4, first 2 shown]
	s_mov_b32 s53, 0x3c91a626
	v_fma_f64 v[2:3], v[37:38], v[2:3], s[54:55]
	s_mov_b32 s54, 0
	s_mov_b32 s55, 0x41d00000
	v_fma_f64 v[41:42], v[37:38], v[2:3], s[56:57]
	v_cvt_f64_i32_e32 v[2:3], v30
	v_mov_b32_e32 v30, 0x260
	s_mov_b32 s56, 0
	s_mov_b32 s57, 0x7b000000
	v_mul_f64 v[26:27], v[2:3], s[58:59]
	v_fma_f64 v[24:25], v[2:3], s[58:59], -v[26:27]
	s_mov_b32 s59, 0x3ff921fb
	v_fma_f64 v[2:3], v[2:3], s[60:61], v[24:25]
	s_mov_b32 s60, 0x54442d18
	s_mov_b32 s61, 0xbff921fb
	v_add_f64 v[24:25], v[26:27], v[2:3]
	v_add_f64 v[26:27], v[24:25], -v[26:27]
	v_add_f64 v[2:3], v[2:3], -v[26:27]
	v_ldexp_f64 v[26:27], v[35:36], 1
	v_fma_f64 v[35:36], v[37:38], v[35:36], v[45:46]
	v_fma_f64 v[28:29], v[39:40], v[28:29], v[35:36]
	v_add_f64 v[35:36], v[43:44], v[28:29]
	v_add_f64 v[43:44], v[35:36], -v[43:44]
	v_add_f64 v[28:29], v[28:29], -v[43:44]
	v_mul_f64 v[43:44], v[37:38], v[41:42]
	v_fma_f64 v[37:38], v[37:38], v[41:42], -v[43:44]
	v_fma_f64 v[37:38], v[39:40], v[41:42], v[37:38]
	v_add_f64 v[39:40], v[43:44], v[37:38]
	v_add_f64 v[41:42], v[39:40], -v[43:44]
	v_add_f64 v[37:38], v[37:38], -v[41:42]
	v_add_f64 v[41:42], v[39:40], s[18:19]
	v_add_f64 v[37:38], v[37:38], s[64:65]
	;; [unrolled: 1-line block ×3, first 2 shown]
	s_mov_b32 s62, 0x6dc9c883
	s_mov_b32 s64, 0x33145c00
	;; [unrolled: 1-line block ×4, first 2 shown]
	v_add_f64 v[39:40], v[39:40], -v[43:44]
	v_add_f64 v[37:38], v[37:38], v[39:40]
	v_add_f64 v[39:40], v[41:42], v[37:38]
	v_add_f64 v[41:42], v[41:42], -v[39:40]
	v_add_f64 v[37:38], v[37:38], v[41:42]
	v_mul_f64 v[41:42], v[35:36], v[39:40]
	v_fma_f64 v[43:44], v[35:36], v[39:40], -v[41:42]
	v_fma_f64 v[35:36], v[35:36], v[37:38], v[43:44]
	v_fma_f64 v[28:29], v[28:29], v[39:40], v[35:36]
	v_add_f64 v[35:36], v[41:42], v[28:29]
	v_add_f64 v[37:38], v[35:36], -v[41:42]
	v_add_f64 v[28:29], v[28:29], -v[37:38]
	v_add_f64 v[37:38], v[33:34], v[35:36]
	v_add_f64 v[26:27], v[26:27], v[28:29]
	v_add_f64 v[33:34], v[37:38], -v[33:34]
	v_add_f64 v[33:34], v[35:36], -v[33:34]
	v_add_f64 v[26:27], v[26:27], v[33:34]
	;; [unrolled: 4-line block ×3, first 2 shown]
	v_add_f64 v[35:36], v[33:34], -v[24:25]
	v_add_f64 v[37:38], v[33:34], -v[35:36]
	;; [unrolled: 1-line block ×4, first 2 shown]
	v_add_f64 v[24:25], v[28:29], v[24:25]
	v_add_f64 v[28:29], v[2:3], v[26:27]
	v_add_f64 v[35:36], v[28:29], -v[2:3]
	v_add_f64 v[24:25], v[28:29], v[24:25]
	v_add_f64 v[37:38], v[28:29], -v[35:36]
	v_add_f64 v[26:27], v[26:27], -v[35:36]
	;; [unrolled: 1-line block ×3, first 2 shown]
	v_add_f64 v[2:3], v[26:27], v[2:3]
	v_add_f64 v[26:27], v[33:34], v[24:25]
	v_add_f64 v[28:29], v[26:27], -v[33:34]
	v_add_f64 v[24:25], v[24:25], -v[28:29]
	v_add_f64 v[2:3], v[2:3], v[24:25]
	v_add_f64 v[24:25], v[26:27], v[2:3]
	v_add_f64 v[26:27], v[24:25], -v[26:27]
	v_add_f64 v[2:3], v[2:3], -v[26:27]
	v_mul_f64 v[26:27], s[4:5], v[24:25]
	v_fma_f64 v[24:25], s[4:5], v[24:25], -v[26:27]
	v_cmp_class_f64_e64 vcc, v[26:27], s66
	v_fma_f64 v[2:3], s[4:5], v[2:3], v[24:25]
	v_add_f64 v[24:25], v[26:27], v[2:3]
	v_add_f64 v[28:29], v[24:25], -v[26:27]
	v_cndmask_b32_e32 v25, v25, v27, vcc
	v_cndmask_b32_e32 v24, v24, v26, vcc
	v_mul_f64 v[26:27], v[24:25], s[68:69]
	v_cmp_neq_f64_e64 vcc, |v[24:25]|, s[16:17]
	v_cmp_ngt_f64_e64 s[0:1], s[14:15], v[24:25]
	s_mov_b32 s16, 0
	s_mov_b32 s15, 0x3ff33333
	v_add_f64 v[2:3], v[2:3], -v[28:29]
	s_mov_b32 s17, 0x3fd5e000
	v_rndne_f64_e32 v[26:27], v[26:27]
	v_cndmask_b32_e32 v3, 0, v3, vcc
	v_cndmask_b32_e32 v2, 0, v2, vcc
	v_cmp_nlt_f64_e32 vcc, s[94:95], v[24:25]
	v_fma_f64 v[28:29], v[26:27], s[70:71], v[24:25]
	s_mov_b32 s70, 0x2f684bda
	s_mov_b32 s95, 0xbfeccccc
	s_mov_b32 s71, 0xc004bda1
	s_and_b64 s[6:7], s[0:1], vcc
	v_fma_f64 v[28:29], v[26:27], s[72:73], v[28:29]
	v_cvt_i32_f64_e32 v26, v[26:27]
	s_and_b64 s[6:7], s[6:7], exec
	s_mov_b32 s72, 0x33145c07
	v_fma_f64 v[4:5], v[28:29], s[76:77], v[4:5]
	s_mov_b32 s76, 0x33333333
	s_mov_b32 s77, 0x3fb33333
	v_fma_f64 v[4:5], v[28:29], v[4:5], s[78:79]
	s_mov_b32 s78, 0xcccccccd
	;; [unrolled: 3-line block ×9, first 2 shown]
	v_fma_f64 v[4:5], v[28:29], v[4:5], 1.0
	v_fma_f64 v[4:5], v[28:29], v[4:5], 1.0
	v_mov_b32_e32 v28, 0x260
	v_ldexp_f64 v[4:5], v[4:5], v26
	v_readfirstlane_b32 s8, v4
	v_cndmask_b32_e32 v5, v49, v5, vcc
	s_cselect_b32 s6, s8, 0
	v_cndmask_b32_e64 v5, 0, v5, s[0:1]
	v_mov_b32_e32 v4, s6
	v_fma_f64 v[2:3], v[4:5], v[2:3], v[4:5]
	v_cmp_class_f64_e64 vcc, v[4:5], s66
	v_readfirstlane_b32 s7, v2
	v_cndmask_b32_e32 v24, v3, v5, vcc
	v_trunc_f64_e32 v[2:3], s[4:5]
	s_and_b64 s[0:1], vcc, exec
	s_cselect_b32 s8, s6, s7
	v_cmp_eq_f64_e32 vcc, s[4:5], v[2:3]
	v_mul_f64 v[2:3], s[4:5], 0.5
	v_cmp_gt_f64_e64 s[4:5], 0, v[14:15]
	v_trunc_f64_e32 v[4:5], v[2:3]
	v_cmp_neq_f64_e64 s[0:1], v[4:5], v[2:3]
	s_and_b64 s[0:1], vcc, s[0:1]
	v_cndmask_b32_e64 v2, v50, v15, s[0:1]
	v_bfi_b32 v2, s11, v24, v2
	v_cndmask_b32_e32 v3, v61, v2, vcc
	s_and_b64 s[6:7], vcc, exec
	s_cselect_b32 s9, s8, 0
	s_and_b64 s[6:7], s[4:5], exec
	v_cndmask_b32_e64 v2, v2, v3, s[4:5]
	v_cmp_class_f64_e64 s[4:5], v[14:15], s66
	v_cmp_eq_f64_e32 vcc, 0, v[14:15]
	s_cselect_b32 s8, s9, s8
	v_cndmask_b32_e64 v3, 0, v15, s[0:1]
	s_or_b64 s[4:5], vcc, s[4:5]
	s_and_b64 s[6:7], vcc, exec
	v_cmp_o_f64_e32 vcc, v[14:15], v[14:15]
	s_cselect_b32 s6, 0, 0x7ff00000
	v_mov_b32_e32 v4, s6
	v_bfi_b32 v3, s11, v4, v3
	s_and_b64 s[0:1], s[4:5], exec
	v_cndmask_b32_e64 v2, v2, v3, s[4:5]
	s_cselect_b32 s4, 0, s8
	v_mov_b32_e32 v4, 0
	s_and_b64 s[0:1], vcc, exec
	s_cselect_b32 s0, s4, 0
	v_cndmask_b32_e32 v3, v61, v2, vcc
	v_mov_b32_e32 v2, s0
	v_add_f64 v[2:3], v[2:3], v[8:9]
	v_mov_b32_e32 v5, 0x40080000
	v_mul_f64 v[4:5], s[12:13], v[4:5]
	s_mov_b32 s8, 0
	s_brev_b32 s9, 8
	s_mov_b32 s4, 0
	s_mov_b32 s5, 0x40080000
	;; [unrolled: 1-line block ×3, first 2 shown]
	v_mul_f64 v[8:9], v[2:3], v[2:3]
	s_movk_i32 s6, 0x1f8
	s_mov_b32 s11, 0x3f931ddb
	s_mov_b32 s7, 0x3f93c924
	v_fma_f64 v[4:5], s[12:13], v[4:5], v[8:9]
	v_cmp_gt_f64_e32 vcc, s[8:9], v[4:5]
	s_and_b64 s[0:1], vcc, exec
	s_cselect_b32 s0, 0x100, 0
	v_ldexp_f64 v[4:5], v[4:5], s0
	s_cselect_b32 s0, 0xffffff80, 0
	v_rsq_f64_e32 v[8:9], v[4:5]
	v_cmp_class_f64_e32 vcc, v[4:5], v28
	v_mul_f64 v[14:15], v[4:5], v[8:9]
	v_mul_f64 v[8:9], v[8:9], 0.5
	v_fma_f64 v[24:25], -v[8:9], v[14:15], 0.5
	v_fma_f64 v[14:15], v[14:15], v[24:25], v[14:15]
	v_fma_f64 v[8:9], v[8:9], v[24:25], v[8:9]
	v_fma_f64 v[26:27], -v[14:15], v[14:15], v[4:5]
	v_fma_f64 v[14:15], v[26:27], v[8:9], v[14:15]
	v_fma_f64 v[24:25], -v[14:15], v[14:15], v[4:5]
	v_fma_f64 v[8:9], v[24:25], v[8:9], v[14:15]
	v_add_f64 v[14:15], -v[2:3], s[4:5]
	v_add_f64 v[2:3], v[2:3], s[4:5]
	v_ldexp_f64 v[8:9], v[8:9], s0
	v_cndmask_b32_e32 v5, v9, v5, vcc
	v_cndmask_b32_e32 v4, v8, v4, vcc
	v_fma_f64 v[2:3], v[4:5], 2.0, v[2:3]
	v_add_f64 v[8:9], v[4:5], s[4:5]
	s_mov_b32 s4, 0
	s_brev_b32 s5, 8
	v_mul_f64 v[2:3], v[14:15], v[2:3]
	v_cmp_gt_f64_e32 vcc, s[8:9], v[2:3]
	s_and_b64 s[0:1], vcc, exec
	s_cselect_b32 s0, 0x100, 0
	v_ldexp_f64 v[2:3], v[2:3], s0
	s_cselect_b32 s0, 0xffffff80, 0
	v_rsq_f64_e32 v[4:5], v[2:3]
	v_cmp_class_f64_e32 vcc, v[2:3], v28
	v_mul_f64 v[14:15], v[2:3], v[4:5]
	v_mul_f64 v[4:5], v[4:5], 0.5
	v_fma_f64 v[24:25], -v[4:5], v[14:15], 0.5
	v_fma_f64 v[14:15], v[14:15], v[24:25], v[14:15]
	v_fma_f64 v[4:5], v[4:5], v[24:25], v[4:5]
	v_fma_f64 v[26:27], -v[14:15], v[14:15], v[2:3]
	v_fma_f64 v[14:15], v[26:27], v[4:5], v[14:15]
	buffer_load_dword v26, off, s[96:99], 0 offset:48 ; 4-byte Folded Reload
	buffer_load_dword v27, off, s[96:99], 0 offset:52 ; 4-byte Folded Reload
	v_fma_f64 v[24:25], -v[14:15], v[14:15], v[2:3]
	v_fma_f64 v[4:5], v[24:25], v[4:5], v[14:15]
	v_ldexp_f64 v[4:5], v[4:5], s0
	v_cndmask_b32_e32 v3, v5, v3, vcc
	v_cndmask_b32_e32 v2, v4, v2, vcc
	v_add_f64 v[2:3], v[8:9], -v[2:3]
	v_mul_f64 v[4:5], v[12:13], v[12:13]
	v_cvt_f32_f64_e32 v2, v[2:3]
	v_fma_f64 v[24:25], v[4:5], s[22:23], v[31:32]
	v_mov_b32_e32 v32, v11
	v_mov_b32_e32 v31, v10
	v_cvt_f64_f32_e32 v[28:29], v2
	v_mul_f64 v[2:3], v[4:5], 0.5
	v_mul_f64 v[10:11], v[0:1], v[22:23]
	v_fma_f64 v[24:25], v[4:5], v[24:25], s[24:25]
	v_add_f64 v[8:9], -v[2:3], 1.0
	v_fma_f64 v[24:25], v[4:5], v[24:25], s[26:27]
	v_add_f64 v[14:15], -v[8:9], 1.0
	v_fma_f64 v[24:25], v[4:5], v[24:25], s[28:29]
	v_add_f64 v[2:3], v[14:15], -v[2:3]
	v_mul_f64 v[14:15], v[4:5], v[4:5]
	v_fma_f64 v[24:25], v[4:5], v[24:25], s[30:31]
	s_waitcnt vmcnt(0)
	v_fma_f64 v[2:3], v[12:13], -v[26:27], v[2:3]
	v_fma_f64 v[2:3], v[14:15], v[24:25], v[2:3]
	v_mul_f64 v[14:15], v[12:13], -v[4:5]
	v_add_f64 v[2:3], v[8:9], v[2:3]
	v_fma_f64 v[8:9], v[4:5], s[36:37], v[20:21]
	v_mul_f64 v[20:21], v[26:27], 0.5
	v_fma_f64 v[8:9], v[4:5], v[8:9], s[38:39]
	v_fma_f64 v[8:9], v[4:5], v[8:9], s[40:41]
	v_fma_f64 v[8:9], v[4:5], v[8:9], s[42:43]
	v_fma_f64 v[8:9], v[14:15], v[8:9], v[20:21]
	v_fma_f64 v[4:5], v[4:5], v[8:9], -v[26:27]
	buffer_load_dword v9, off, s[96:99], 0 offset:40 ; 4-byte Folded Reload
	v_fma_f64 v[4:5], v[14:15], s[44:45], v[4:5]
	v_add_f64 v[4:5], v[12:13], -v[4:5]
	s_waitcnt vmcnt(0)
	v_and_b32_e32 v8, 1, v9
	v_cmp_eq_u32_e32 vcc, 0, v8
	v_cndmask_b32_e32 v2, v2, v4, vcc
	v_lshlrev_b32_e32 v4, 30, v9
	v_xor_b32_e32 v4, v4, v54
	v_cndmask_b32_e32 v3, v3, v5, vcc
	v_and_b32_e32 v4, 0x80000000, v4
	v_xor_b32_e32 v3, v3, v4
	v_fma_f64 v[4:5], v[51:52], -2.0, v[55:56]
	v_cndmask_b32_e64 v2, 0, v2, s[2:3]
	v_cndmask_b32_e64 v3, v61, v3, s[2:3]
	v_mul_f64 v[2:3], v[2:3], v[2:3]
	v_mov_b32_e32 v56, 0
	v_mov_b32_e32 v57, 0x3fe00000
	v_add_f64 v[8:9], v[31:32], v[4:5]
	v_fma_f64 v[4:5], v[51:52], -2.0, v[0:1]
	v_div_scale_f64 v[12:13], s[0:1], v[8:9], v[8:9], v[10:11]
	v_rcp_f64_e32 v[14:15], v[12:13]
	v_fma_f64 v[20:21], -v[12:13], v[14:15], 1.0
	v_fma_f64 v[14:15], v[14:15], v[20:21], v[14:15]
	v_fma_f64 v[20:21], -v[12:13], v[14:15], 1.0
	v_fma_f64 v[14:15], v[14:15], v[20:21], v[14:15]
	v_div_scale_f64 v[20:21], vcc, v[10:11], v[8:9], v[10:11]
	v_mul_f64 v[24:25], v[20:21], v[14:15]
	v_fma_f64 v[12:13], -v[12:13], v[24:25], v[20:21]
	s_nop 1
	v_div_fmas_f64 v[12:13], v[12:13], v[14:15], v[24:25]
	v_mul_f64 v[14:15], v[22:23], v[22:23]
	v_div_scale_f64 v[20:21], s[0:1], v[8:9], v[8:9], v[14:15]
	v_div_fixup_f64 v[12:13], v[12:13], v[8:9], v[10:11]
	v_mul_f64 v[10:11], v[0:1], v[16:17]
	v_mul_f64 v[0:1], v[8:9], v[0:1]
	v_rcp_f64_e32 v[22:23], v[20:21]
	v_fma_f64 v[24:25], -v[20:21], v[22:23], 1.0
	v_fma_f64 v[22:23], v[22:23], v[24:25], v[22:23]
	v_fma_f64 v[24:25], -v[20:21], v[22:23], 1.0
	v_fma_f64 v[22:23], v[22:23], v[24:25], v[22:23]
	v_div_scale_f64 v[24:25], vcc, v[14:15], v[8:9], v[14:15]
	v_mul_f64 v[26:27], v[24:25], v[22:23]
	v_fma_f64 v[20:21], -v[20:21], v[26:27], v[24:25]
	s_nop 1
	v_div_fmas_f64 v[20:21], v[20:21], v[22:23], v[26:27]
	v_div_fixup_f64 v[14:15], v[20:21], v[8:9], v[14:15]
	v_fma_f64 v[14:15], v[16:17], v[16:17], v[14:15]
	v_mul_f64 v[16:17], v[8:9], v[2:3]
	v_mul_f64 v[16:17], v[6:7], v[16:17]
	v_mul_f64 v[16:17], v[6:7], v[16:17]
	v_fma_f64 v[14:15], v[4:5], v[14:15], v[16:17]
	v_mov_b32_e32 v16, 0x100
	v_cmp_gt_f64_e32 vcc, s[4:5], v[14:15]
	v_cndmask_b32_e32 v16, 0, v16, vcc
	v_ldexp_f64 v[14:15], v[14:15], v16
	v_rsq_f64_e32 v[16:17], v[14:15]
	v_mul_f64 v[20:21], v[14:15], v[16:17]
	v_mul_f64 v[16:17], v[16:17], 0.5
	v_fma_f64 v[22:23], -v[16:17], v[20:21], 0.5
	v_fma_f64 v[20:21], v[20:21], v[22:23], v[20:21]
	v_fma_f64 v[16:17], v[16:17], v[22:23], v[16:17]
	v_fma_f64 v[24:25], -v[20:21], v[20:21], v[14:15]
	v_fma_f64 v[20:21], v[24:25], v[16:17], v[20:21]
	v_fma_f64 v[22:23], -v[20:21], v[20:21], v[14:15]
	v_fma_f64 v[16:17], v[22:23], v[16:17], v[20:21]
	v_mov_b32_e32 v20, 0xffffff80
	v_cndmask_b32_e32 v20, 0, v20, vcc
	v_cmp_class_f64_e32 vcc, v[14:15], v30
	v_ldexp_f64 v[16:17], v[16:17], v20
	v_cndmask_b32_e32 v15, v17, v15, vcc
	v_cndmask_b32_e32 v14, v16, v14, vcc
	v_div_scale_f64 v[16:17], s[0:1], v[14:15], v[14:15], v[12:13]
	v_rcp_f64_e32 v[20:21], v[16:17]
	v_fma_f64 v[22:23], -v[16:17], v[20:21], 1.0
	v_fma_f64 v[20:21], v[20:21], v[22:23], v[20:21]
	v_fma_f64 v[22:23], -v[16:17], v[20:21], 1.0
	v_fma_f64 v[20:21], v[20:21], v[22:23], v[20:21]
	v_div_scale_f64 v[22:23], vcc, v[12:13], v[14:15], v[12:13]
	v_mul_f64 v[24:25], v[22:23], v[20:21]
	v_fma_f64 v[16:17], -v[16:17], v[24:25], v[22:23]
	s_nop 1
	v_div_fmas_f64 v[16:17], v[16:17], v[20:21], v[24:25]
	v_div_fixup_f64 v[12:13], v[16:17], v[14:15], v[12:13]
	buffer_store_dword v12, off, s[96:99], 0 offset:40 ; 4-byte Folded Spill
	s_nop 0
	buffer_store_dword v13, off, s[96:99], 0 offset:44 ; 4-byte Folded Spill
	v_div_scale_f64 v[12:13], s[0:1], v[14:15], v[14:15], v[10:11]
	v_rcp_f64_e32 v[16:17], v[12:13]
	v_fma_f64 v[20:21], -v[12:13], v[16:17], 1.0
	v_fma_f64 v[16:17], v[16:17], v[20:21], v[16:17]
	v_fma_f64 v[20:21], -v[12:13], v[16:17], 1.0
	v_fma_f64 v[16:17], v[16:17], v[20:21], v[16:17]
	v_div_scale_f64 v[20:21], vcc, v[10:11], v[14:15], v[10:11]
	v_mul_f64 v[22:23], v[20:21], v[16:17]
	v_fma_f64 v[12:13], -v[12:13], v[22:23], v[20:21]
	s_nop 1
	v_div_fmas_f64 v[12:13], v[12:13], v[16:17], v[22:23]
	buffer_load_dword v16, off, s[96:99], 0 offset:536 ; 4-byte Folded Reload
	buffer_load_dword v17, off, s[96:99], 0 offset:540 ; 4-byte Folded Reload
	v_div_fixup_f64 v[20:21], v[12:13], v[14:15], v[10:11]
	buffer_store_dword v20, off, s[96:99], 0 offset:48 ; 4-byte Folded Spill
	s_nop 0
	buffer_store_dword v21, off, s[96:99], 0 offset:52 ; 4-byte Folded Spill
	s_waitcnt vmcnt(2)
	v_mul_f64 v[8:9], v[16:17], v[51:52]
	v_mul_f64 v[8:9], v[8:9], v[14:15]
	v_fma_f64 v[0:1], v[0:1], v[6:7], -v[8:9]
	v_mul_f64 v[0:1], v[2:3], v[0:1]
	v_div_scale_f64 v[6:7], s[0:1], v[4:5], v[4:5], v[0:1]
	v_rcp_f64_e32 v[8:9], v[6:7]
	v_fma_f64 v[10:11], -v[6:7], v[8:9], 1.0
	v_fma_f64 v[8:9], v[8:9], v[10:11], v[8:9]
	v_fma_f64 v[10:11], -v[6:7], v[8:9], 1.0
	v_fma_f64 v[8:9], v[8:9], v[10:11], v[8:9]
	v_div_scale_f64 v[10:11], vcc, v[0:1], v[4:5], v[0:1]
	v_mul_f64 v[12:13], v[10:11], v[8:9]
	v_fma_f64 v[6:7], -v[6:7], v[12:13], v[10:11]
	s_nop 1
	v_div_fmas_f64 v[6:7], v[6:7], v[8:9], v[12:13]
	v_div_fixup_f64 v[0:1], v[6:7], v[4:5], v[0:1]
	v_div_scale_f64 v[4:5], s[0:1], v[14:15], v[14:15], v[0:1]
	v_rcp_f64_e32 v[6:7], v[4:5]
	v_fma_f64 v[8:9], -v[4:5], v[6:7], 1.0
	v_fma_f64 v[6:7], v[6:7], v[8:9], v[6:7]
	v_fma_f64 v[8:9], -v[4:5], v[6:7], 1.0
	v_fma_f64 v[6:7], v[6:7], v[8:9], v[6:7]
	v_div_scale_f64 v[8:9], vcc, v[0:1], v[14:15], v[0:1]
	v_mul_f64 v[10:11], v[8:9], v[6:7]
	v_fma_f64 v[4:5], -v[4:5], v[10:11], v[8:9]
	s_nop 1
	v_div_fmas_f64 v[4:5], v[4:5], v[6:7], v[10:11]
	v_div_fixup_f64 v[12:13], v[4:5], v[14:15], v[0:1]
	v_mul_f64 v[0:1], v[20:21], v[20:21]
	v_mov_b32_e32 v20, v31
	v_mov_b32_e32 v21, v32
	v_mul_f64 v[14:15], v[12:13], v[12:13]
	v_fma_f64 v[0:1], v[20:21], v[2:3], v[0:1]
	v_div_scale_f64 v[4:5], s[0:1], v[2:3], v[2:3], v[14:15]
	v_readlane_b32 s0, v63, 2
	v_readlane_b32 s1, v63, 3
	v_rcp_f64_e32 v[6:7], v[4:5]
	v_fma_f64 v[8:9], -v[4:5], v[6:7], 1.0
	v_fma_f64 v[6:7], v[6:7], v[8:9], v[6:7]
	v_fma_f64 v[8:9], -v[4:5], v[6:7], 1.0
	v_fma_f64 v[6:7], v[6:7], v[8:9], v[6:7]
	v_div_scale_f64 v[8:9], vcc, v[14:15], v[2:3], v[14:15]
	buffer_store_dword v14, off, s[96:99], 0 offset:72 ; 4-byte Folded Spill
	s_nop 0
	buffer_store_dword v15, off, s[96:99], 0 offset:76 ; 4-byte Folded Spill
	v_mul_f64 v[10:11], v[8:9], v[6:7]
	v_fma_f64 v[4:5], -v[4:5], v[10:11], v[8:9]
	v_div_fmas_f64 v[4:5], v[4:5], v[6:7], v[10:11]
	v_div_fixup_f64 v[2:3], v[4:5], v[2:3], v[14:15]
	v_mov_b32_e32 v5, 0
	v_mov_b32_e32 v4, v5
	v_add_f64 v[0:1], v[0:1], v[2:3]
	buffer_store_dword v0, off, s[96:99], 0 offset:144 ; 4-byte Folded Spill
	s_nop 0
	buffer_store_dword v1, off, s[96:99], 0 offset:148 ; 4-byte Folded Spill
	buffer_load_dword v0, off, s[96:99], 0 offset:8 ; 4-byte Folded Reload
	s_nop 0
	buffer_load_dword v1, off, s[96:99], 0 offset:16 ; 4-byte Folded Reload
	buffer_load_dword v6, off, s[96:99], 0  ; 4-byte Folded Reload
	buffer_load_dword v7, off, s[96:99], 0 offset:4 ; 4-byte Folded Reload
	v_mov_b32_e32 v2, s1
	s_waitcnt vmcnt(2)
	v_lshl_add_u32 v0, v1, 10, v0
	v_lshl_add_u32 v3, v0, 1, v0
	v_lshlrev_b64 v[0:1], 3, v[3:4]
	v_add_co_u32_e32 v0, vcc, s0, v0
	v_addc_co_u32_e32 v1, vcc, v2, v1, vcc
	s_waitcnt vmcnt(0)
	global_store_dwordx2 v[0:1], v[6:7], off
	v_mov_b32_e32 v0, v3
	buffer_store_dword v0, off, s[96:99], 0 offset:592 ; 4-byte Folded Spill
	s_nop 0
	buffer_store_dword v1, off, s[96:99], 0 offset:596 ; 4-byte Folded Spill
	v_mov_b32_e32 v1, 0
	buffer_store_dword v1, off, s[96:99], 0 ; 4-byte Folded Spill
	s_nop 0
	buffer_store_dword v2, off, s[96:99], 0 offset:4 ; 4-byte Folded Spill
	v_add_u32_e32 v0, 1, v3
	v_mov_b32_e32 v1, v5
	v_lshlrev_b64 v[0:1], 3, v[0:1]
	v_add_co_u32_e32 v0, vcc, s0, v0
	v_addc_co_u32_e32 v1, vcc, v2, v1, vcc
	buffer_load_dword v2, off, s[96:99], 0 offset:64 ; 4-byte Folded Reload
	buffer_load_dword v3, off, s[96:99], 0 offset:68 ; 4-byte Folded Reload
	v_cmp_gt_f64_e32 vcc, s[4:5], v[28:29]
	s_and_b64 s[0:1], vcc, exec
	s_cselect_b32 s0, 0x100, 0
	s_waitcnt vmcnt(0)
	global_store_dwordx2 v[0:1], v[2:3], off
	buffer_store_dword v12, off, s[96:99], 0 offset:320 ; 4-byte Folded Spill
	s_nop 0
	buffer_store_dword v13, off, s[96:99], 0 offset:324 ; 4-byte Folded Spill
	v_ldexp_f64 v[2:3], v[28:29], s0
	s_cselect_b32 s0, 0xffffff80, 0
	v_rsq_f64_e32 v[4:5], v[2:3]
	v_cmp_class_f64_e32 vcc, v[2:3], v30
	v_mul_f64 v[6:7], v[2:3], v[4:5]
	v_mul_f64 v[4:5], v[4:5], 0.5
	v_fma_f64 v[8:9], -v[4:5], v[6:7], 0.5
	v_fma_f64 v[6:7], v[6:7], v[8:9], v[6:7]
	v_fma_f64 v[4:5], v[4:5], v[8:9], v[4:5]
	v_fma_f64 v[10:11], -v[6:7], v[6:7], v[2:3]
	v_fma_f64 v[6:7], v[10:11], v[4:5], v[6:7]
	v_fma_f64 v[8:9], -v[6:7], v[6:7], v[2:3]
	v_fma_f64 v[4:5], v[8:9], v[4:5], v[6:7]
	v_mul_f64 v[0:1], v[16:17], v[12:13]
	buffer_store_dword v0, off, s[96:99], 0 offset:80 ; 4-byte Folded Spill
	s_nop 0
	buffer_store_dword v1, off, s[96:99], 0 offset:84 ; 4-byte Folded Spill
	v_ldexp_f64 v[4:5], v[4:5], s0
	v_mul_f64 v[0:1], v[28:29], v[28:29]
	v_cndmask_b32_e32 v5, v5, v3, vcc
	v_cndmask_b32_e32 v4, v4, v2, vcc
	v_fma_f64 v[2:3], -v[16:17], v[4:5], v[0:1]
	v_mul_f64 v[0:1], v[0:1], v[28:29]
	v_add_f64 v[2:3], v[20:21], v[2:3]
	v_cmp_gt_f64_e32 vcc, s[4:5], v[0:1]
	s_and_b64 s[0:1], vcc, exec
	s_cselect_b32 s0, 0x100, 0
	v_ldexp_f64 v[0:1], v[0:1], s0
	s_cselect_b32 s0, 0xffffff80, 0
	v_rsq_f64_e32 v[6:7], v[0:1]
	v_cmp_class_f64_e32 vcc, v[0:1], v30
	v_mul_f64 v[8:9], v[0:1], v[6:7]
	v_mul_f64 v[6:7], v[6:7], 0.5
	v_fma_f64 v[10:11], -v[6:7], v[8:9], 0.5
	v_fma_f64 v[8:9], v[8:9], v[10:11], v[8:9]
	v_fma_f64 v[6:7], v[6:7], v[10:11], v[6:7]
	v_fma_f64 v[12:13], -v[8:9], v[8:9], v[0:1]
	v_fma_f64 v[8:9], v[12:13], v[6:7], v[8:9]
	v_fma_f64 v[10:11], -v[8:9], v[8:9], v[0:1]
	v_fma_f64 v[6:7], v[10:11], v[6:7], v[8:9]
	v_ldexp_f64 v[6:7], v[6:7], s0
	v_cndmask_b32_e32 v1, v7, v1, vcc
	v_cndmask_b32_e32 v0, v6, v0, vcc
	v_fma_f64 v[0:1], v[4:5], -2.0, v[0:1]
	v_add_f64 v[0:1], s[12:13], v[0:1]
	v_div_scale_f64 v[4:5], s[0:1], v[0:1], v[0:1], v[2:3]
	v_rcp_f64_e32 v[6:7], v[4:5]
	v_fma_f64 v[8:9], -v[4:5], v[6:7], 1.0
	v_fma_f64 v[6:7], v[6:7], v[8:9], v[6:7]
	v_fma_f64 v[8:9], -v[4:5], v[6:7], 1.0
	v_fma_f64 v[6:7], v[6:7], v[8:9], v[6:7]
	v_div_scale_f64 v[8:9], vcc, v[2:3], v[0:1], v[2:3]
	v_mul_f64 v[10:11], v[8:9], v[6:7]
	v_fma_f64 v[4:5], -v[4:5], v[10:11], v[8:9]
	s_nop 1
	v_div_fmas_f64 v[4:5], v[4:5], v[6:7], v[10:11]
	v_div_fixup_f64 v[0:1], v[4:5], v[0:1], v[2:3]
	buffer_store_dword v0, off, s[96:99], 0 offset:552 ; 4-byte Folded Spill
	s_nop 0
	buffer_store_dword v1, off, s[96:99], 0 offset:556 ; 4-byte Folded Spill
	v_div_scale_f64 v[0:1], s[0:1], v[28:29], v[28:29], s[18:19]
	s_mov_b32 s1, s19
	v_writelane_b32 v63, s0, 20
	v_writelane_b32 v63, s1, 21
	v_rcp_f64_e32 v[2:3], v[0:1]
	v_fma_f64 v[4:5], -v[0:1], v[2:3], 1.0
	v_fma_f64 v[2:3], v[2:3], v[4:5], v[2:3]
	v_fma_f64 v[4:5], -v[0:1], v[2:3], 1.0
	v_fma_f64 v[2:3], v[2:3], v[4:5], v[2:3]
	v_div_scale_f64 v[4:5], vcc, s[18:19], v[28:29], s[18:19]
	buffer_store_dword v28, off, s[96:99], 0 offset:544 ; 4-byte Folded Spill
	s_nop 0
	buffer_store_dword v29, off, s[96:99], 0 offset:548 ; 4-byte Folded Spill
	v_mul_f64 v[6:7], v[4:5], v[2:3]
	v_fma_f64 v[0:1], -v[0:1], v[6:7], v[4:5]
	v_div_fmas_f64 v[0:1], v[0:1], v[2:3], v[6:7]
	v_div_fixup_f64 v[0:1], v[0:1], v[28:29], s[18:19]
	s_mov_b32 s18, 0x252049c0
	s_mov_b32 s19, 0xb97b839a
	v_add_f64 v[2:3], -v[0:1], 1.0
	v_cmp_gt_f64_e32 vcc, s[4:5], v[2:3]
	s_and_b64 s[0:1], vcc, exec
	s_cselect_b32 s0, 0x100, 0
	v_ldexp_f64 v[2:3], v[2:3], s0
	s_cselect_b32 s0, 0xffffff80, 0
	v_rsq_f64_e32 v[4:5], v[2:3]
	v_cmp_class_f64_e32 vcc, v[2:3], v30
	v_mul_f64 v[6:7], v[2:3], v[4:5]
	v_mul_f64 v[4:5], v[4:5], 0.5
	v_fma_f64 v[8:9], -v[4:5], v[6:7], 0.5
	v_fma_f64 v[6:7], v[6:7], v[8:9], v[6:7]
	v_fma_f64 v[4:5], v[4:5], v[8:9], v[4:5]
	v_fma_f64 v[10:11], -v[6:7], v[6:7], v[2:3]
	v_fma_f64 v[6:7], v[10:11], v[4:5], v[6:7]
	v_fma_f64 v[8:9], -v[6:7], v[6:7], v[2:3]
	v_fma_f64 v[4:5], v[8:9], v[4:5], v[6:7]
	v_ldexp_f64 v[4:5], v[4:5], s0
	v_cndmask_b32_e32 v3, v5, v3, vcc
	v_cndmask_b32_e32 v2, v4, v2, vcc
	v_cmp_gt_f64_e32 vcc, s[4:5], v[0:1]
	buffer_store_dword v2, off, s[96:99], 0 offset:560 ; 4-byte Folded Spill
	s_nop 0
	buffer_store_dword v3, off, s[96:99], 0 offset:564 ; 4-byte Folded Spill
	s_and_b64 s[0:1], vcc, exec
	s_cselect_b32 s0, 0x100, 0
	v_ldexp_f64 v[0:1], v[0:1], s0
	s_cselect_b32 s0, 0xffffff80, 0
	v_rsq_f64_e32 v[2:3], v[0:1]
	v_cmp_class_f64_e32 vcc, v[0:1], v30
	v_mul_f64 v[4:5], v[0:1], v[2:3]
	v_mul_f64 v[2:3], v[2:3], 0.5
	v_fma_f64 v[6:7], -v[2:3], v[4:5], 0.5
	v_fma_f64 v[4:5], v[4:5], v[6:7], v[4:5]
	v_fma_f64 v[2:3], v[2:3], v[6:7], v[2:3]
	v_fma_f64 v[8:9], -v[4:5], v[4:5], v[0:1]
	v_fma_f64 v[4:5], v[8:9], v[2:3], v[4:5]
	v_fma_f64 v[6:7], -v[4:5], v[4:5], v[0:1]
	v_fma_f64 v[2:3], v[6:7], v[2:3], v[4:5]
	v_ldexp_f64 v[2:3], v[2:3], s0
	s_mov_b64 s[0:1], 0
	v_writelane_b32 v63, s0, 22
	v_writelane_b32 v63, s1, 23
	s_mov_b32 s1, 0x3feccccc
	v_writelane_b32 v63, s0, 24
	v_writelane_b32 v63, s1, 25
	s_mov_b32 s1, 0x3fb99999
	v_cndmask_b32_e32 v1, v3, v1, vcc
	v_cndmask_b32_e32 v0, v2, v0, vcc
	buffer_store_dword v0, off, s[96:99], 0 offset:568 ; 4-byte Folded Spill
	s_nop 0
	buffer_store_dword v1, off, s[96:99], 0 offset:572 ; 4-byte Folded Spill
	v_mov_b32_e32 v0, 0x9037ab78
	v_mov_b32_e32 v1, 0x3e21eeb6
	buffer_store_dword v0, off, s[96:99], 0 offset:456 ; 4-byte Folded Spill
	s_nop 0
	buffer_store_dword v1, off, s[96:99], 0 offset:460 ; 4-byte Folded Spill
	v_mov_b32_e32 v0, 0xb42fdfa7
	v_mov_b32_e32 v1, 0xbe5ae600
	;; [unrolled: 5-line block ×4, first 2 shown]
	v_writelane_b32 v63, s0, 26
	buffer_store_dword v0, off, s[96:99], 0 offset:512 ; 4-byte Folded Spill
	s_nop 0
	buffer_store_dword v1, off, s[96:99], 0 offset:516 ; 4-byte Folded Spill
	v_writelane_b32 v63, s1, 27
	s_mov_b32 s0, 0x9b27acf1
	v_mov_b32_e32 v0, 0x238f6764
	v_mov_b32_e32 v1, 0x3ef18354
	v_writelane_b32 v63, s0, 28
	buffer_store_dword v0, off, s[96:99], 0 offset:576 ; 4-byte Folded Spill
	s_nop 0
	buffer_store_dword v1, off, s[96:99], 0 offset:580 ; 4-byte Folded Spill
	v_writelane_b32 v63, s1, 29
	s_mov_b32 s0, 0x998ef7b6
	v_mov_b32_e32 v0, 0x6b47b09a
	v_mov_b32_e32 v1, 0x3fc38538
	v_writelane_b32 v63, s0, 30
	buffer_store_dword v0, off, s[96:99], 0 offset:584 ; 4-byte Folded Spill
	s_nop 0
	buffer_store_dword v1, off, s[96:99], 0 offset:588 ; 4-byte Folded Spill
	v_writelane_b32 v63, s1, 31
	s_mov_b32 s0, 0x55555780
	v_mov_b32_e32 v0, 0
	v_writelane_b32 v63, s0, 32
	v_mov_b32_e32 v1, 0
	v_writelane_b32 v63, s1, 33
	s_mov_b32 s1, 0x402921fb
	buffer_store_dword v0, off, s[96:99], 0 offset:528 ; 4-byte Folded Spill
	s_nop 0
	buffer_store_dword v1, off, s[96:99], 0 offset:532 ; 4-byte Folded Spill
	v_writelane_b32 v63, s0, 34
	v_mov_b32_e32 v0, 0
	v_writelane_b32 v63, s1, 35
	v_mov_b32_e32 v1, 0
	buffer_store_dword v0, off, s[96:99], 0 offset:488 ; 4-byte Folded Spill
	s_nop 0
	buffer_store_dword v1, off, s[96:99], 0 offset:492 ; 4-byte Folded Spill
	s_branch .LBB1_79
.LBB1_77:                               ;   in Loop: Header=BB1_79 Depth=1
	s_or_b64 exec, exec, s[2:3]
	v_mul_f64 v[48:49], v[8:9], v[8:9]
	buffer_load_dword v59, off, s[96:99], 0 offset:24 ; 4-byte Folded Reload
	buffer_load_dword v60, off, s[96:99], 0 offset:28 ; 4-byte Folded Reload
	s_mov_b32 s2, 0x9037ab78
	s_mov_b32 s3, 0x3e21eeb6
	;; [unrolled: 1-line block ×3, first 2 shown]
	v_and_b32_e32 v26, 1, v44
	v_cmp_eq_u32_e32 vcc, 0, v26
	v_lshlrev_b32_e32 v26, 30, v44
	v_mul_f64 v[39:40], v[48:49], 0.5
	v_mul_f64 v[52:53], v[48:49], v[48:49]
	v_and_b32_e32 v26, 0x80000000, v26
	v_mov_b32_e32 v61, 0x7ff80000
	s_mov_b32 s0, 0
	s_brev_b32 s1, 8
	v_readlane_b32 s74, v63, 10
	v_readlane_b32 s75, v63, 11
	v_add_f64 v[50:51], -v[39:40], 1.0
	s_mov_b32 s4, s52
	s_mov_b32 s5, s43
	;; [unrolled: 1-line block ×4, first 2 shown]
	s_brev_b32 s14, -2
	v_add_f64 v[41:42], -v[50:51], 1.0
	v_add_f64 v[39:40], v[41:42], -v[39:40]
	v_mov_b32_e32 v42, s3
	v_mov_b32_e32 v41, s2
	v_fma_f64 v[54:55], v[48:49], s[22:23], v[41:42]
	s_mov_b32 s2, 0xb42fdfa7
	s_mov_b32 s3, 0xbe5ae600
	v_fma_f64 v[39:40], v[8:9], -v[37:38], v[39:40]
	v_fma_f64 v[54:55], v[48:49], v[54:55], s[24:25]
	v_fma_f64 v[54:55], v[48:49], v[54:55], s[26:27]
	v_fma_f64 v[54:55], v[48:49], v[54:55], s[28:29]
	v_fma_f64 v[54:55], v[48:49], v[54:55], s[30:31]
	v_fma_f64 v[39:40], v[52:53], v[54:55], v[39:40]
	v_mul_f64 v[54:55], v[8:9], -v[48:49]
	s_waitcnt vmcnt(0)
	v_cmp_class_f64_e64 s[8:9], v[59:60], s6
	v_mul_f64 v[58:59], v[37:38], 0.5
	v_add_f64 v[50:51], v[50:51], v[39:40]
	v_mov_b32_e32 v40, s3
	v_mov_b32_e32 v39, s2
	v_fma_f64 v[52:53], v[48:49], s[36:37], v[39:40]
	v_fma_f64 v[52:53], v[48:49], v[52:53], s[38:39]
	;; [unrolled: 1-line block ×5, first 2 shown]
	buffer_load_dword v58, off, s[96:99], 0 offset:32 ; 4-byte Folded Reload
	buffer_load_dword v59, off, s[96:99], 0 offset:36 ; 4-byte Folded Reload
	v_fma_f64 v[37:38], v[48:49], v[52:53], -v[37:38]
	v_fma_f64 v[37:38], v[54:55], s[44:45], v[37:38]
	v_add_f64 v[8:9], v[8:9], -v[37:38]
	v_mul_f64 v[37:38], v[4:5], v[4:5]
	v_xor_b32_e32 v9, 0x80000000, v9
	v_mul_f64 v[44:45], v[37:38], 0.5
	v_fma_f64 v[52:53], v[37:38], s[22:23], v[41:42]
	v_cndmask_b32_e32 v8, v8, v50, vcc
	v_cndmask_b32_e32 v9, v9, v51, vcc
	v_mul_f64 v[50:51], v[37:38], v[37:38]
	v_xor_b32_e32 v9, v9, v26
	v_and_b32_e32 v26, 1, v47
	v_cmp_eq_u32_e32 vcc, 0, v26
	v_add_f64 v[48:49], -v[44:45], 1.0
	v_fma_f64 v[52:53], v[37:38], v[52:53], s[24:25]
	v_cndmask_b32_e64 v8, 0, v8, s[8:9]
	v_cndmask_b32_e64 v9, v61, v9, s[8:9]
	v_add_f64 v[54:55], -v[48:49], 1.0
	v_fma_f64 v[52:53], v[37:38], v[52:53], s[26:27]
	v_add_f64 v[44:45], v[54:55], -v[44:45]
	v_fma_f64 v[52:53], v[37:38], v[52:53], s[28:29]
	v_fma_f64 v[44:45], v[4:5], -v[14:15], v[44:45]
	v_fma_f64 v[52:53], v[37:38], v[52:53], s[30:31]
	v_fma_f64 v[44:45], v[50:51], v[52:53], v[44:45]
	;; [unrolled: 1-line block ×3, first 2 shown]
	v_mul_f64 v[52:53], v[14:15], 0.5
	s_waitcnt vmcnt(0)
	v_mul_f64 v[8:9], v[58:59], v[8:9]
	v_add_f64 v[44:45], v[48:49], v[44:45]
	v_fma_f64 v[50:51], v[37:38], v[50:51], s[38:39]
	v_mul_f64 v[48:49], v[4:5], -v[37:38]
	v_fma_f64 v[50:51], v[37:38], v[50:51], s[40:41]
	v_fma_f64 v[50:51], v[37:38], v[50:51], s[42:43]
	;; [unrolled: 1-line block ×3, first 2 shown]
	v_fma_f64 v[14:15], v[37:38], v[50:51], -v[14:15]
	v_fma_f64 v[14:15], v[48:49], s[44:45], v[14:15]
	v_add_f64 v[4:5], v[4:5], -v[14:15]
	v_lshlrev_b32_e32 v14, 30, v47
	v_and_b32_e32 v14, 0x80000000, v14
	v_mul_f64 v[47:48], v[10:11], 0.5
	v_xor_b32_e32 v5, 0x80000000, v5
	v_cndmask_b32_e32 v5, v5, v45, vcc
	v_xor_b32_e32 v5, v5, v14
	v_and_b32_e32 v14, 1, v46
	v_cndmask_b32_e32 v4, v4, v44, vcc
	v_cmp_eq_u32_e32 vcc, 0, v14
	v_mul_f64 v[14:15], v[6:7], v[6:7]
	v_cndmask_b32_e64 v4, 0, v4, s[8:9]
	v_cndmask_b32_e64 v5, v61, v5, s[8:9]
	v_mul_f64 v[4:5], v[4:5], v[4:5]
	v_fma_f64 v[44:45], v[14:15], s[36:37], v[39:40]
	v_mul_f64 v[37:38], v[6:7], -v[14:15]
	v_fma_f64 v[51:52], v[14:15], s[22:23], v[41:42]
	v_mul_f64 v[49:50], v[14:15], v[14:15]
	v_fma_f64 v[44:45], v[14:15], v[44:45], s[38:39]
	v_fma_f64 v[51:52], v[14:15], v[51:52], s[24:25]
	;; [unrolled: 1-line block ×7, first 2 shown]
	v_fma_f64 v[44:45], v[14:15], v[44:45], -v[10:11]
	v_fma_f64 v[37:38], v[37:38], s[44:45], v[44:45]
	v_mul_f64 v[44:45], v[14:15], 0.5
	v_fma_f64 v[14:15], v[14:15], v[51:52], s[30:31]
	v_add_f64 v[37:38], v[6:7], -v[37:38]
	v_add_f64 v[47:48], -v[44:45], 1.0
	v_add_f64 v[51:52], -v[47:48], 1.0
	v_add_f64 v[44:45], v[51:52], -v[44:45]
	v_fma_f64 v[6:7], v[6:7], -v[10:11], v[44:45]
	v_lshlrev_b32_e32 v10, 30, v46
	v_xor_b32_e32 v10, v10, v60
	v_and_b32_e32 v10, 0x80000000, v10
	v_fma_f64 v[6:7], v[49:50], v[14:15], v[6:7]
	v_add_f64 v[6:7], v[47:48], v[6:7]
	v_cndmask_b32_e32 v6, v6, v37, vcc
	v_cndmask_b32_e32 v7, v7, v38, vcc
	buffer_load_dword v37, off, s[96:99], 0 offset:56 ; 4-byte Folded Reload
	buffer_load_dword v38, off, s[96:99], 0 offset:60 ; 4-byte Folded Reload
	v_xor_b32_e32 v7, v7, v10
	v_cndmask_b32_e64 v6, 0, v6, s[8:9]
	v_cndmask_b32_e64 v7, v61, v7, s[8:9]
	v_mul_f64 v[6:7], v[6:7], v[6:7]
	s_waitcnt vmcnt(0)
	v_mul_f64 v[14:15], v[37:38], v[2:3]
	v_add_f64 v[10:11], v[37:38], v[18:19]
	v_fma_f64 v[4:5], v[37:38], v[4:5], v[18:19]
	v_mul_f64 v[14:15], v[6:7], v[14:15]
	v_fma_f64 v[10:11], v[10:11], v[10:11], -v[14:15]
	v_mul_f64 v[10:11], v[6:7], v[10:11]
	v_div_scale_f64 v[14:15], s[2:3], v[4:5], v[4:5], v[10:11]
	v_rcp_f64_e32 v[18:19], v[14:15]
	v_fma_f64 v[37:38], -v[14:15], v[18:19], 1.0
	v_fma_f64 v[18:19], v[18:19], v[37:38], v[18:19]
	v_fma_f64 v[37:38], -v[14:15], v[18:19], 1.0
	v_fma_f64 v[18:19], v[18:19], v[37:38], v[18:19]
	v_div_scale_f64 v[37:38], vcc, v[10:11], v[4:5], v[10:11]
	v_mul_f64 v[44:45], v[37:38], v[18:19]
	v_fma_f64 v[14:15], -v[14:15], v[44:45], v[37:38]
	s_nop 1
	v_div_fmas_f64 v[14:15], v[14:15], v[18:19], v[44:45]
	v_div_fixup_f64 v[10:11], v[14:15], v[4:5], v[10:11]
	v_div_scale_f64 v[14:15], s[2:3], v[2:3], v[2:3], v[4:5]
	v_rcp_f64_e32 v[18:19], v[14:15]
	v_fma_f64 v[37:38], -v[14:15], v[18:19], 1.0
	v_fma_f64 v[18:19], v[18:19], v[37:38], v[18:19]
	v_fma_f64 v[37:38], -v[14:15], v[18:19], 1.0
	v_fma_f64 v[18:19], v[18:19], v[37:38], v[18:19]
	v_div_scale_f64 v[37:38], vcc, v[4:5], v[2:3], v[4:5]
	v_mul_f64 v[44:45], v[37:38], v[18:19]
	v_fma_f64 v[14:15], -v[14:15], v[44:45], v[37:38]
	s_nop 1
	v_div_fmas_f64 v[14:15], v[14:15], v[18:19], v[44:45]
	v_div_fixup_f64 v[2:3], v[14:15], v[2:3], v[4:5]
	buffer_load_dword v14, off, s[96:99], 0 offset:536 ; 4-byte Folded Reload
	buffer_load_dword v15, off, s[96:99], 0 offset:540 ; 4-byte Folded Reload
	v_mul_f64 v[2:3], v[2:3], v[20:21]
	v_fma_f64 v[2:3], v[20:21], v[2:3], 1.0
	s_waitcnt vmcnt(0)
	v_mul_f64 v[14:15], v[14:15], v[58:59]
	v_mul_f64 v[6:7], v[14:15], v[6:7]
	v_div_scale_f64 v[14:15], s[2:3], v[4:5], v[4:5], v[6:7]
	v_rcp_f64_e32 v[18:19], v[14:15]
	v_fma_f64 v[37:38], -v[14:15], v[18:19], 1.0
	v_fma_f64 v[18:19], v[18:19], v[37:38], v[18:19]
	v_fma_f64 v[37:38], -v[14:15], v[18:19], 1.0
	v_fma_f64 v[18:19], v[18:19], v[37:38], v[18:19]
	v_div_scale_f64 v[37:38], vcc, v[6:7], v[4:5], v[6:7]
	v_mul_f64 v[44:45], v[37:38], v[18:19]
	v_fma_f64 v[14:15], -v[14:15], v[44:45], v[37:38]
	s_nop 1
	v_div_fmas_f64 v[14:15], v[14:15], v[18:19], v[44:45]
	v_div_fixup_f64 v[6:7], v[14:15], v[4:5], v[6:7]
	v_div_scale_f64 v[14:15], s[2:3], v[4:5], v[4:5], v[12:13]
	v_rcp_f64_e32 v[18:19], v[14:15]
	v_fma_f64 v[37:38], -v[14:15], v[18:19], 1.0
	v_fma_f64 v[18:19], v[18:19], v[37:38], v[18:19]
	v_fma_f64 v[37:38], -v[14:15], v[18:19], 1.0
	v_fma_f64 v[18:19], v[18:19], v[37:38], v[18:19]
	v_div_scale_f64 v[37:38], vcc, v[12:13], v[4:5], v[12:13]
	v_mul_f64 v[44:45], v[37:38], v[18:19]
	v_fma_f64 v[14:15], -v[14:15], v[44:45], v[37:38]
	s_nop 1
	v_div_fmas_f64 v[14:15], v[14:15], v[18:19], v[44:45]
	v_mov_b32_e32 v44, 0xffffff80
	v_mov_b32_e32 v45, 0x260
	v_div_fixup_f64 v[4:5], v[14:15], v[4:5], v[12:13]
	v_div_scale_f64 v[12:13], s[2:3], v[22:23], v[22:23], v[24:25]
	v_add_f64 v[4:5], -v[4:5], 1.0
	v_rcp_f64_e32 v[14:15], v[12:13]
	v_fma_f64 v[18:19], -v[12:13], v[14:15], 1.0
	v_fma_f64 v[14:15], v[14:15], v[18:19], v[14:15]
	v_fma_f64 v[18:19], -v[12:13], v[14:15], 1.0
	v_fma_f64 v[14:15], v[14:15], v[18:19], v[14:15]
	v_div_scale_f64 v[18:19], vcc, v[24:25], v[22:23], v[24:25]
	v_mul_f64 v[37:38], v[18:19], v[14:15]
	v_fma_f64 v[12:13], -v[12:13], v[37:38], v[18:19]
	s_nop 1
	v_div_fmas_f64 v[12:13], v[12:13], v[14:15], v[37:38]
	v_mov_b32_e32 v38, 0x100
	v_div_fixup_f64 v[12:13], v[12:13], v[22:23], v[24:25]
	v_mul_f64 v[14:15], v[12:13], v[12:13]
	v_fma_f64 v[4:5], v[10:11], v[14:15], -v[4:5]
	v_add_f64 v[10:11], v[12:13], v[12:13]
	v_fma_f64 v[4:5], -v[6:7], v[10:11], v[4:5]
	v_div_scale_f64 v[6:7], s[2:3], -v[4:5], -v[4:5], v[2:3]
	v_readlane_b32 s2, v63, 4
	v_readlane_b32 s3, v63, 5
	v_rcp_f64_e32 v[10:11], v[6:7]
	v_fma_f64 v[14:15], -v[6:7], v[10:11], 1.0
	v_fma_f64 v[10:11], v[10:11], v[14:15], v[10:11]
	v_fma_f64 v[14:15], -v[6:7], v[10:11], 1.0
	v_fma_f64 v[10:11], v[10:11], v[14:15], v[10:11]
	v_div_scale_f64 v[14:15], vcc, v[2:3], -v[4:5], v[2:3]
	v_mul_f64 v[18:19], v[14:15], v[10:11]
	v_fma_f64 v[6:7], -v[6:7], v[18:19], v[14:15]
	s_nop 1
	v_div_fmas_f64 v[6:7], v[6:7], v[10:11], v[18:19]
	v_div_fixup_f64 v[2:3], v[6:7], -v[4:5], v[2:3]
	v_cmp_gt_f64_e32 vcc, s[0:1], v[2:3]
	s_mov_b32 s0, 0xfefa39ef
	s_mov_b32 s1, 0x3fe62e42
	v_cndmask_b32_e32 v4, 0, v38, vcc
	v_ldexp_f64 v[2:3], v[2:3], v4
	v_rsq_f64_e32 v[4:5], v[2:3]
	v_mul_f64 v[6:7], v[2:3], v[4:5]
	v_mul_f64 v[4:5], v[4:5], 0.5
	v_fma_f64 v[10:11], -v[4:5], v[6:7], 0.5
	v_fma_f64 v[6:7], v[6:7], v[10:11], v[6:7]
	v_fma_f64 v[4:5], v[4:5], v[10:11], v[4:5]
	v_fma_f64 v[14:15], -v[6:7], v[6:7], v[2:3]
	v_fma_f64 v[6:7], v[14:15], v[4:5], v[6:7]
	v_fma_f64 v[10:11], -v[6:7], v[6:7], v[2:3]
	v_fma_f64 v[4:5], v[10:11], v[4:5], v[6:7]
	v_cndmask_b32_e32 v6, 0, v44, vcc
	v_cmp_class_f64_e32 vcc, v[2:3], v45
	v_ldexp_f64 v[4:5], v[4:5], v6
	buffer_load_dword v6, off, s[96:99], 0 offset:320 ; 4-byte Folded Reload
	buffer_load_dword v7, off, s[96:99], 0 offset:324 ; 4-byte Folded Reload
	v_cndmask_b32_e32 v3, v5, v3, vcc
	v_cndmask_b32_e32 v2, v4, v2, vcc
	v_mul_f64 v[4:5], v[12:13], v[2:3]
	s_waitcnt vmcnt(0)
	v_fma_f64 v[2:3], v[6:7], v[4:5], -v[2:3]
	buffer_load_dword v4, off, s[96:99], 0 offset:40 ; 4-byte Folded Reload
	buffer_load_dword v5, off, s[96:99], 0 offset:44 ; 4-byte Folded Reload
	s_waitcnt vmcnt(0)
	v_fma_f64 v[6:7], v[4:5], v[20:21], v[2:3]
	v_mul_f64 v[2:3], v[33:34], v[33:34]
	v_mul_f64 v[10:11], s[2:3], -v[6:7]
	v_mul_f64 v[4:5], v[2:3], 0.5
	v_fma_f64 v[18:19], v[2:3], s[22:23], v[41:42]
	v_add_f64 v[12:13], -v[4:5], 1.0
	v_fma_f64 v[18:19], v[2:3], v[18:19], s[24:25]
	v_add_f64 v[14:15], -v[12:13], 1.0
	v_fma_f64 v[18:19], v[2:3], v[18:19], s[26:27]
	v_add_f64 v[4:5], v[14:15], -v[4:5]
	v_fma_f64 v[18:19], v[2:3], v[18:19], s[28:29]
	v_mul_f64 v[14:15], v[2:3], v[2:3]
	v_fma_f64 v[4:5], v[33:34], -v[35:36], v[4:5]
	v_fma_f64 v[18:19], v[2:3], v[18:19], s[30:31]
	v_fma_f64 v[4:5], v[14:15], v[18:19], v[4:5]
	v_mul_f64 v[14:15], v[33:34], -v[2:3]
	v_mul_f64 v[18:19], v[35:36], 0.5
	v_add_f64 v[4:5], v[12:13], v[4:5]
	v_fma_f64 v[12:13], v[2:3], s[36:37], v[39:40]
	v_mov_b32_e32 v39, 0x7ff00000
	v_mov_b32_e32 v40, 0x3ff00000
	v_fma_f64 v[12:13], v[2:3], v[12:13], s[38:39]
	v_fma_f64 v[12:13], v[2:3], v[12:13], s[40:41]
	;; [unrolled: 1-line block ×4, first 2 shown]
	v_fma_f64 v[2:3], v[2:3], v[12:13], -v[35:36]
	v_and_b32_e32 v12, 1, v43
	v_cmp_eq_u32_e32 vcc, 0, v12
	v_fma_f64 v[2:3], v[14:15], s[44:45], v[2:3]
	s_movk_i32 s44, 0x204
	v_add_f64 v[2:3], v[33:34], -v[2:3]
	v_cndmask_b32_e32 v2, v4, v2, vcc
	v_lshlrev_b32_e32 v4, 30, v43
	v_xor_b32_e32 v4, v4, v60
	v_cndmask_b32_e32 v3, v5, v3, vcc
	v_and_b32_e32 v4, 0x80000000, v4
	v_xor_b32_e32 v3, v3, v4
	v_mul_f64 v[4:5], v[8:9], -v[8:9]
	v_cndmask_b32_e64 v2, 0, v2, s[8:9]
	v_cndmask_b32_e64 v3, v61, v3, s[8:9]
	v_mul_f64 v[2:3], v[58:59], v[2:3]
	v_mul_f64 v[4:5], v[4:5], 0.5
	v_div_scale_f64 v[8:9], s[2:3], v[2:3], v[2:3], v[4:5]
	v_rcp_f64_e32 v[12:13], v[8:9]
	v_fma_f64 v[14:15], -v[8:9], v[12:13], 1.0
	v_fma_f64 v[12:13], v[12:13], v[14:15], v[12:13]
	v_fma_f64 v[14:15], -v[8:9], v[12:13], 1.0
	v_fma_f64 v[12:13], v[12:13], v[14:15], v[12:13]
	v_div_scale_f64 v[14:15], vcc, v[4:5], v[2:3], v[4:5]
	v_mul_f64 v[18:19], v[14:15], v[12:13]
	v_fma_f64 v[8:9], -v[8:9], v[18:19], v[14:15]
	s_nop 1
	v_div_fmas_f64 v[8:9], v[8:9], v[12:13], v[18:19]
	v_div_fixup_f64 v[4:5], v[8:9], v[2:3], v[4:5]
	v_div_scale_f64 v[8:9], s[2:3], v[2:3], v[2:3], v[4:5]
	v_readlane_b32 s2, v63, 12
	v_readlane_b32 s3, v63, 13
	s_mov_b32 s2, s0
	v_writelane_b32 v63, s2, 12
	v_writelane_b32 v63, s3, 13
	s_mov_b32 s0, 0x3b39803f
	s_mov_b32 s1, 0x3c7abc9e
	v_rcp_f64_e32 v[12:13], v[8:9]
	v_fma_f64 v[14:15], -v[8:9], v[12:13], 1.0
	v_fma_f64 v[12:13], v[12:13], v[14:15], v[12:13]
	v_fma_f64 v[14:15], -v[8:9], v[12:13], 1.0
	v_fma_f64 v[12:13], v[12:13], v[14:15], v[12:13]
	v_div_scale_f64 v[14:15], vcc, v[4:5], v[2:3], v[4:5]
	v_mul_f64 v[18:19], v[14:15], v[12:13]
	v_fma_f64 v[8:9], -v[8:9], v[18:19], v[14:15]
	s_nop 1
	v_div_fmas_f64 v[8:9], v[8:9], v[12:13], v[18:19]
	v_div_fixup_f64 v[2:3], v[8:9], v[2:3], v[4:5]
	v_mul_f64 v[4:5], v[2:3], s[74:75]
	v_rndne_f64_e32 v[4:5], v[4:5]
	v_fma_f64 v[8:9], v[4:5], s[2:3], v[2:3]
	v_readlane_b32 s2, v63, 14
	v_readlane_b32 s3, v63, 15
	s_mov_b32 s1, s3
	s_mov_b32 s2, 0xfca7ab0c
	;; [unrolled: 1-line block ×3, first 2 shown]
	v_mov_b32_e32 v13, s3
	v_mov_b32_e32 v12, s2
	v_fma_f64 v[8:9], v[4:5], s[0:1], v[8:9]
	s_mov_b32 s2, 0x6a5dcb37
	s_mov_b32 s3, 0x3e5ade15
	v_cvt_i32_f64_e32 v4, v[4:5]
	v_writelane_b32 v63, s0, 14
	v_writelane_b32 v63, s1, 15
	v_fma_f64 v[14:15], v[8:9], s[2:3], v[12:13]
	s_mov_b32 s2, 0x623fde64
	s_mov_b32 s3, 0x3ec71dee
	v_fma_f64 v[14:15], v[8:9], v[14:15], s[2:3]
	s_mov_b32 s2, 0x7c89e6b0
	s_mov_b32 s3, 0x3efa0199
	v_fma_f64 v[14:15], v[8:9], v[14:15], s[2:3]
	s_mov_b32 s2, 0x14761f6e
	s_mov_b32 s3, 0x3f2a01a0
	v_fma_f64 v[14:15], v[8:9], v[14:15], s[2:3]
	s_mov_b32 s2, 0x1852b7b0
	s_mov_b32 s3, 0x3f56c16c
	v_fma_f64 v[14:15], v[8:9], v[14:15], s[2:3]
	s_mov_b32 s2, 0x55555511
	s_mov_b32 s3, 0x3fc55555
	v_fma_f64 v[14:15], v[8:9], v[14:15], s[4:5]
	v_writelane_b32 v63, s4, 16
	v_writelane_b32 v63, s5, 17
	v_fma_f64 v[14:15], v[8:9], v[14:15], s[68:69]
	v_writelane_b32 v63, s68, 18
	v_writelane_b32 v63, s69, 19
	v_fma_f64 v[14:15], v[8:9], v[14:15], s[2:3]
	s_mov_b32 s2, 11
	s_mov_b32 s3, 0x3fe00000
	v_fma_f64 v[14:15], v[8:9], v[14:15], s[2:3]
	s_mov_b32 s2, 0
	s_mov_b32 s3, 0x417c9c38
	v_fma_f64 v[14:15], v[8:9], v[14:15], 1.0
	v_fma_f64 v[8:9], v[8:9], v[14:15], 1.0
	v_ldexp_f64 v[4:5], v[8:9], v4
	v_mul_f64 v[4:5], v[4:5], s[2:3]
	s_mov_b32 s2, 0
	s_mov_b32 s3, 0x40900000
	v_cmp_nlt_f64_e32 vcc, s[2:3], v[2:3]
	s_mov_b32 s2, 0
	s_mov_b32 s3, 0xc090cc00
	v_cmp_ngt_f64_e64 s[8:9], s[2:3], v[2:3]
	v_cndmask_b32_e32 v5, v39, v5, vcc
	s_and_b64 vcc, s[8:9], vcc
	v_cndmask_b32_e64 v3, 0, v5, s[8:9]
	v_readlane_b32 s8, v63, 40
	v_cndmask_b32_e32 v2, 0, v4, vcc
	v_mov_b32_e32 v4, 0xbff19999
	v_readlane_b32 s9, v63, 41
	v_cndmask_b32_e64 v5, v4, v40, s[8:9]
	v_mov_b32_e32 v4, 0x9999999a
	v_cndmask_b32_e64 v4, v4, 0, s[8:9]
	v_mul_f64 v[8:9], v[4:5], v[27:28]
	s_mov_b32 s8, 0
	s_mov_b32 s9, 0x7ff00000
	v_fma_f64 v[14:15], v[4:5], v[27:28], -v[8:9]
	v_cmp_class_f64_e64 vcc, v[8:9], s44
	v_fma_f64 v[14:15], v[4:5], v[31:32], v[14:15]
	v_add_f64 v[18:19], v[8:9], v[14:15]
	v_add_f64 v[20:21], v[18:19], -v[8:9]
	v_cndmask_b32_e32 v9, v19, v9, vcc
	v_cndmask_b32_e32 v8, v18, v8, vcc
	v_mul_f64 v[18:19], v[8:9], s[74:75]
	v_readlane_b32 s74, v63, 12
	v_readlane_b32 s75, v63, 13
	v_cmp_neq_f64_e64 vcc, |v[8:9]|, s[8:9]
	s_mov_b32 s8, 0x53c8d4f1
	v_add_f64 v[14:15], v[14:15], -v[20:21]
	s_mov_b32 s9, 0x400921fb
	v_rndne_f64_e32 v[18:19], v[18:19]
	v_cndmask_b32_e32 v15, 0, v15, vcc
	v_cndmask_b32_e32 v14, 0, v14, vcc
	v_fma_f64 v[20:21], v[18:19], s[74:75], v[8:9]
	v_fma_f64 v[20:21], v[18:19], s[0:1], v[20:21]
	s_mov_b32 s0, 0x6a5dcb37
	s_mov_b32 s1, 0x3e5ade15
	v_cvt_i32_f64_e32 v18, v[18:19]
	v_fma_f64 v[22:23], v[20:21], s[0:1], v[12:13]
	s_mov_b32 s0, 0x623fde64
	s_mov_b32 s1, 0x3ec71dee
	v_fma_f64 v[22:23], v[20:21], v[22:23], s[0:1]
	s_mov_b32 s0, 0x7c89e6b0
	s_mov_b32 s1, 0x3efa0199
	;; [unrolled: 3-line block ×5, first 2 shown]
	v_fma_f64 v[22:23], v[20:21], v[22:23], s[4:5]
	v_cmp_ngt_f64_e64 s[4:5], s[2:3], v[8:9]
	s_mov_b32 s2, 0
	s_mov_b32 s3, 0x40180000
	v_fma_f64 v[22:23], v[20:21], v[22:23], s[68:69]
	s_mov_b32 s68, 0xf3a00000
	s_mov_b32 s69, 0x421beb9b
	v_fma_f64 v[22:23], v[20:21], v[22:23], s[0:1]
	s_mov_b32 s0, 11
	s_mov_b32 s1, 0x3fe00000
	v_fma_f64 v[22:23], v[20:21], v[22:23], s[0:1]
	s_mov_b32 s0, 0
	s_mov_b32 s1, 0x40900000
	v_cmp_nlt_f64_e32 vcc, s[0:1], v[8:9]
	v_readlane_b32 s0, v63, 42
	v_readlane_b32 s1, v63, 43
	v_fma_f64 v[22:23], v[20:21], v[22:23], 1.0
	v_fma_f64 v[20:21], v[20:21], v[22:23], 1.0
	v_ldexp_f64 v[18:19], v[20:21], v18
	v_cndmask_b32_e32 v19, v39, v19, vcc
	s_and_b64 vcc, s[4:5], vcc
	v_cndmask_b32_e32 v8, 0, v18, vcc
	v_cndmask_b32_e64 v9, 0, v19, s[4:5]
	v_fma_f64 v[14:15], v[8:9], v[14:15], v[8:9]
	v_cmp_class_f64_e64 vcc, v[8:9], s44
	v_cndmask_b32_e32 v18, v14, v8, vcc
	v_cndmask_b32_e32 v19, v15, v9, vcc
	v_trunc_f64_e32 v[8:9], v[4:5]
	v_cmp_eq_f64_e64 s[4:5], v[8:9], v[4:5]
	v_mul_f64 v[8:9], v[4:5], 0.5
	v_trunc_f64_e32 v[14:15], v[8:9]
	v_cmp_neq_f64_e32 vcc, v[14:15], v[8:9]
	v_cndmask_b32_e64 v9, 0, v18, s[4:5]
	v_cndmask_b32_e64 v9, v18, v9, s[0:1]
	s_and_b64 vcc, s[4:5], vcc
	v_cndmask_b32_e32 v8, v40, v59, vcc
	v_bfi_b32 v8, s14, v19, v8
	v_cndmask_b32_e64 v14, v61, v8, s[4:5]
	v_cmp_gt_f64_e64 s[4:5], 0, v[4:5]
	v_cndmask_b32_e64 v8, v8, v14, s[0:1]
	v_readlane_b32 s0, v63, 38
	v_readlane_b32 s1, v63, 39
	v_cndmask_b32_e32 v5, 0, v59, vcc
	s_xor_b64 s[0:1], s[0:1], s[4:5]
	v_cndmask_b32_e64 v4, v39, 0, s[0:1]
	v_readlane_b32 s0, v63, 20
	v_bfi_b32 v5, s14, v4, v5
	v_readlane_b32 s1, v63, 21
	v_cndmask_b32_e64 v4, v9, 0, s[0:1]
	v_cndmask_b32_e64 v5, v8, v5, s[0:1]
	v_mul_f64 v[4:5], v[4:5], v[2:3]
	s_mov_b32 s0, 0x763a43f4
	s_mov_b32 s1, 0x40041b2f
	;; [unrolled: 1-line block ×4, first 2 shown]
	v_mul_f64 v[2:3], v[4:5], s[0:1]
	s_mov_b32 s0, 0xd69d246c
	s_mov_b32 s1, 0x3b002d36
	v_mul_f64 v[2:3], v[2:3], s[0:1]
	v_mul_f64 v[2:3], v[2:3], s[68:69]
	;; [unrolled: 1-line block ×3, first 2 shown]
	v_div_scale_f64 v[8:9], s[0:1], s[2:3], s[2:3], v[2:3]
	v_rcp_f64_e32 v[14:15], v[8:9]
	v_fma_f64 v[18:19], -v[8:9], v[14:15], 1.0
	v_fma_f64 v[14:15], v[14:15], v[18:19], v[14:15]
	v_fma_f64 v[18:19], -v[8:9], v[14:15], 1.0
	v_fma_f64 v[14:15], v[14:15], v[18:19], v[14:15]
	v_div_scale_f64 v[18:19], vcc, v[2:3], s[2:3], v[2:3]
	v_mul_f64 v[20:21], v[18:19], v[14:15]
	v_fma_f64 v[8:9], -v[8:9], v[20:21], v[18:19]
	s_nop 1
	v_div_fmas_f64 v[8:9], v[8:9], v[14:15], v[20:21]
	v_div_fixup_f64 v[2:3], v[8:9], s[2:3], v[2:3]
	s_mov_b32 s2, 0x635807cb
	s_mov_b32 s3, 0x3a520b02
	v_div_scale_f64 v[8:9], s[0:1], v[58:59], v[58:59], v[2:3]
	s_mov_b32 s0, 0
	s_brev_b32 s1, 8
	v_rcp_f64_e32 v[14:15], v[8:9]
	v_fma_f64 v[18:19], -v[8:9], v[14:15], 1.0
	v_fma_f64 v[14:15], v[14:15], v[18:19], v[14:15]
	v_fma_f64 v[18:19], -v[8:9], v[14:15], 1.0
	v_fma_f64 v[14:15], v[14:15], v[18:19], v[14:15]
	v_div_scale_f64 v[18:19], vcc, v[2:3], v[58:59], v[2:3]
	v_mul_f64 v[20:21], v[18:19], v[14:15]
	v_fma_f64 v[8:9], -v[8:9], v[20:21], v[18:19]
	s_nop 1
	v_div_fmas_f64 v[8:9], v[8:9], v[14:15], v[20:21]
	v_div_fixup_f64 v[2:3], v[8:9], v[58:59], v[2:3]
	v_cmp_gt_f64_e32 vcc, s[0:1], v[2:3]
	v_cndmask_b32_e32 v8, 0, v38, vcc
	v_ldexp_f64 v[2:3], v[2:3], v8
	v_rsq_f64_e32 v[8:9], v[2:3]
	v_mul_f64 v[14:15], v[2:3], v[8:9]
	v_mul_f64 v[8:9], v[8:9], 0.5
	v_fma_f64 v[18:19], -v[8:9], v[14:15], 0.5
	v_fma_f64 v[14:15], v[14:15], v[18:19], v[14:15]
	v_fma_f64 v[8:9], v[8:9], v[18:19], v[8:9]
	v_fma_f64 v[20:21], -v[14:15], v[14:15], v[2:3]
	v_fma_f64 v[14:15], v[20:21], v[8:9], v[14:15]
	v_fma_f64 v[18:19], -v[14:15], v[14:15], v[2:3]
	v_fma_f64 v[8:9], v[18:19], v[8:9], v[14:15]
	v_cndmask_b32_e32 v14, 0, v44, vcc
	v_cmp_class_f64_e32 vcc, v[2:3], v45
	v_ldexp_f64 v[8:9], v[8:9], v14
	v_cndmask_b32_e32 v3, v9, v3, vcc
	v_cndmask_b32_e32 v2, v8, v2, vcc
	v_mul_f64 v[2:3], v[2:3], s[4:5]
	v_mul_f64 v[2:3], v[2:3], 0.5
	v_div_scale_f64 v[8:9], s[0:1], s[8:9], s[8:9], v[2:3]
	v_rcp_f64_e32 v[14:15], v[8:9]
	v_fma_f64 v[18:19], -v[8:9], v[14:15], 1.0
	v_fma_f64 v[14:15], v[14:15], v[18:19], v[14:15]
	v_fma_f64 v[18:19], -v[8:9], v[14:15], 1.0
	v_fma_f64 v[14:15], v[14:15], v[18:19], v[14:15]
	v_div_scale_f64 v[18:19], vcc, v[2:3], s[8:9], v[2:3]
	v_mul_f64 v[20:21], v[18:19], v[14:15]
	v_fma_f64 v[8:9], -v[8:9], v[20:21], v[18:19]
	s_nop 1
	v_div_fmas_f64 v[8:9], v[8:9], v[14:15], v[20:21]
	v_div_fixup_f64 v[2:3], v[8:9], s[8:9], v[2:3]
	v_div_scale_f64 v[8:9], s[0:1], s[2:3], s[2:3], v[2:3]
	v_rcp_f64_e32 v[14:15], v[8:9]
	v_fma_f64 v[18:19], -v[8:9], v[14:15], 1.0
	v_fma_f64 v[14:15], v[14:15], v[18:19], v[14:15]
	v_fma_f64 v[18:19], -v[8:9], v[14:15], 1.0
	v_fma_f64 v[14:15], v[14:15], v[18:19], v[14:15]
	v_div_scale_f64 v[18:19], vcc, v[2:3], s[2:3], v[2:3]
	v_mul_f64 v[20:21], v[18:19], v[14:15]
	v_fma_f64 v[8:9], -v[8:9], v[20:21], v[18:19]
	s_nop 1
	v_div_fmas_f64 v[8:9], v[8:9], v[14:15], v[20:21]
	v_div_fixup_f64 v[2:3], v[8:9], s[2:3], v[2:3]
	s_mov_b32 s2, 0
	s_mov_b32 s3, 0x40080000
	v_div_scale_f64 v[8:9], s[0:1], s[68:69], s[68:69], v[2:3]
	v_rcp_f64_e32 v[14:15], v[8:9]
	v_fma_f64 v[18:19], -v[8:9], v[14:15], 1.0
	v_fma_f64 v[14:15], v[14:15], v[18:19], v[14:15]
	v_fma_f64 v[18:19], -v[8:9], v[14:15], 1.0
	v_fma_f64 v[14:15], v[14:15], v[18:19], v[14:15]
	v_div_scale_f64 v[18:19], vcc, v[2:3], s[68:69], v[2:3]
	v_mul_f64 v[20:21], v[18:19], v[14:15]
	v_fma_f64 v[8:9], -v[8:9], v[20:21], v[18:19]
	s_nop 1
	v_div_fmas_f64 v[8:9], v[8:9], v[14:15], v[20:21]
	v_div_fixup_f64 v[8:9], v[8:9], s[68:69], v[2:3]
	v_add_f64 v[2:3], v[10:11], v[10:11]
	v_div_scale_f64 v[14:15], s[0:1], s[2:3], s[2:3], v[2:3]
	v_rcp_f64_e32 v[18:19], v[14:15]
	v_fma_f64 v[20:21], -v[14:15], v[18:19], 1.0
	v_fma_f64 v[18:19], v[18:19], v[20:21], v[18:19]
	v_fma_f64 v[20:21], -v[14:15], v[18:19], 1.0
	v_fma_f64 v[18:19], v[18:19], v[20:21], v[18:19]
	v_div_scale_f64 v[20:21], vcc, v[2:3], s[2:3], v[2:3]
	v_mul_f64 v[22:23], v[20:21], v[18:19]
	v_fma_f64 v[14:15], -v[14:15], v[22:23], v[20:21]
	s_nop 1
	v_div_fmas_f64 v[14:15], v[14:15], v[18:19], v[22:23]
	v_div_fixup_f64 v[14:15], v[14:15], s[2:3], v[2:3]
	s_mov_b32 s2, 0xe8584caa
	s_mov_b32 s3, 0x3ffbb67a
	v_mul_f64 v[2:3], v[10:11], v[2:3]
	v_div_scale_f64 v[18:19], s[0:1], v[8:9], v[8:9], v[14:15]
	v_mul_f64 v[2:3], v[10:11], v[2:3]
	v_rcp_f64_e32 v[20:21], v[18:19]
	v_fma_f64 v[22:23], -v[18:19], v[20:21], 1.0
	v_fma_f64 v[20:21], v[20:21], v[22:23], v[20:21]
	v_fma_f64 v[22:23], -v[18:19], v[20:21], 1.0
	v_fma_f64 v[20:21], v[20:21], v[22:23], v[20:21]
	v_div_scale_f64 v[22:23], vcc, v[14:15], v[8:9], v[14:15]
	v_mul_f64 v[24:25], v[22:23], v[20:21]
	v_fma_f64 v[18:19], -v[18:19], v[24:25], v[22:23]
	s_nop 1
	v_div_fmas_f64 v[18:19], v[18:19], v[20:21], v[24:25]
	v_div_fixup_f64 v[8:9], v[18:19], v[8:9], v[14:15]
	v_div_scale_f64 v[14:15], s[0:1], v[16:17], v[16:17], v[8:9]
	v_rcp_f64_e32 v[18:19], v[14:15]
	v_fma_f64 v[20:21], -v[14:15], v[18:19], 1.0
	v_fma_f64 v[18:19], v[18:19], v[20:21], v[18:19]
	v_fma_f64 v[20:21], -v[14:15], v[18:19], 1.0
	v_fma_f64 v[18:19], v[18:19], v[20:21], v[18:19]
	v_div_scale_f64 v[20:21], vcc, v[8:9], v[16:17], v[8:9]
	v_mul_f64 v[22:23], v[20:21], v[18:19]
	v_fma_f64 v[14:15], -v[14:15], v[22:23], v[20:21]
	s_nop 1
	v_div_fmas_f64 v[14:15], v[14:15], v[18:19], v[22:23]
	v_div_fixup_f64 v[8:9], v[14:15], v[16:17], v[8:9]
	v_div_scale_f64 v[14:15], s[0:1], v[16:17], v[16:17], v[8:9]
	v_readlane_b32 s0, v63, 34
	v_readlane_b32 s1, v63, 35
	s_mov_b32 s9, s1
	v_mul_f64 v[4:5], v[4:5], s[8:9]
	v_writelane_b32 v63, s0, 34
	v_writelane_b32 v63, s1, 35
	v_mul_f64 v[4:5], v[4:5], s[4:5]
	v_rcp_f64_e32 v[18:19], v[14:15]
	v_mul_f64 v[4:5], v[4:5], s[4:5]
	s_mov_b32 s4, 0x4222de17
	s_mov_b32 s5, 0x3fbdee67
	v_mul_f64 v[4:5], v[10:11], v[4:5]
	v_fma_f64 v[20:21], -v[14:15], v[18:19], 1.0
	v_fma_f64 v[18:19], v[18:19], v[20:21], v[18:19]
	v_fma_f64 v[20:21], -v[14:15], v[18:19], 1.0
	v_fma_f64 v[18:19], v[18:19], v[20:21], v[18:19]
	v_div_scale_f64 v[20:21], vcc, v[8:9], v[16:17], v[8:9]
	v_mul_f64 v[22:23], v[20:21], v[18:19]
	v_fma_f64 v[14:15], -v[14:15], v[22:23], v[20:21]
	s_nop 1
	v_div_fmas_f64 v[14:15], v[14:15], v[18:19], v[22:23]
	v_div_fixup_f64 v[14:15], v[14:15], v[16:17], v[8:9]
	v_div_scale_f64 v[8:9], s[0:1], s[2:3], s[2:3], v[4:5]
	v_rcp_f64_e32 v[16:17], v[8:9]
	v_fma_f64 v[18:19], -v[8:9], v[16:17], 1.0
	v_fma_f64 v[16:17], v[16:17], v[18:19], v[16:17]
	v_fma_f64 v[18:19], -v[8:9], v[16:17], 1.0
	v_fma_f64 v[16:17], v[16:17], v[18:19], v[16:17]
	v_div_scale_f64 v[18:19], vcc, v[4:5], s[2:3], v[4:5]
	v_mul_f64 v[20:21], v[18:19], v[16:17]
	v_fma_f64 v[8:9], -v[8:9], v[20:21], v[18:19]
	s_nop 1
	v_div_fmas_f64 v[8:9], v[8:9], v[16:17], v[20:21]
	v_div_fixup_f64 v[4:5], v[8:9], s[2:3], v[4:5]
	s_mov_b32 s3, s73
	s_mov_b32 s2, s30
	v_div_scale_f64 v[8:9], s[0:1], v[29:30], v[29:30], v[4:5]
	v_rcp_f64_e32 v[16:17], v[8:9]
	v_fma_f64 v[18:19], -v[8:9], v[16:17], 1.0
	v_fma_f64 v[16:17], v[16:17], v[18:19], v[16:17]
	v_fma_f64 v[18:19], -v[8:9], v[16:17], 1.0
	v_fma_f64 v[16:17], v[16:17], v[18:19], v[16:17]
	v_div_scale_f64 v[18:19], vcc, v[4:5], v[29:30], v[4:5]
	v_mul_f64 v[20:21], v[18:19], v[16:17]
	v_fma_f64 v[8:9], -v[8:9], v[20:21], v[18:19]
	s_nop 1
	v_div_fmas_f64 v[8:9], v[8:9], v[16:17], v[20:21]
	v_div_fixup_f64 v[4:5], v[8:9], v[29:30], v[4:5]
	v_div_scale_f64 v[8:9], s[0:1], s[68:69], s[68:69], v[4:5]
	v_cmp_eq_f64_e64 s[0:1], 1.0, v[14:15]
	v_writelane_b32 v63, s0, 46
	v_writelane_b32 v63, s1, 47
	v_rcp_f64_e32 v[16:17], v[8:9]
	v_fma_f64 v[18:19], -v[8:9], v[16:17], 1.0
	v_fma_f64 v[16:17], v[16:17], v[18:19], v[16:17]
	v_fma_f64 v[18:19], -v[8:9], v[16:17], 1.0
	v_fma_f64 v[16:17], v[16:17], v[18:19], v[16:17]
	v_div_scale_f64 v[18:19], vcc, v[4:5], s[68:69], v[4:5]
	v_mul_f64 v[20:21], v[18:19], v[16:17]
	v_fma_f64 v[8:9], -v[8:9], v[20:21], v[18:19]
	v_frexp_exp_i32_f64_e32 v18, v[14:15]
	s_nop 0
	v_div_fmas_f64 v[8:9], v[8:9], v[16:17], v[20:21]
	v_div_fixup_f64 v[4:5], v[8:9], s[68:69], v[4:5]
	v_mov_b32_e32 v8, 0x3fc55555
	v_cndmask_b32_e64 v17, v8, v40, s[0:1]
	v_mov_b32_e32 v8, 0x55555555
	v_cndmask_b32_e64 v16, v8, 0, s[0:1]
	v_frexp_mant_f64_e64 v[8:9], |v[14:15]|
	s_mov_b32 s0, 0x9999999c
	s_mov_b32 s1, 0x3fd99999
	s_mov_b64 s[68:69], s[74:75]
	s_mov_b32 s74, 0x45a1cac1
	s_mov_b32 s75, 0x401033b6
	v_cmp_gt_f64_e32 vcc, s[2:3], v[8:9]
	v_cndmask_b32_e64 v19, 0, 1, vcc
	v_ldexp_f64 v[8:9], v[8:9], v19
	v_subbrev_co_u32_e32 v30, vcc, 0, v18, vcc
	v_add_f64 v[20:21], v[8:9], 1.0
	v_add_f64 v[18:19], v[8:9], -1.0
	v_add_f64 v[22:23], v[20:21], -1.0
	v_add_f64 v[8:9], v[8:9], -v[22:23]
	v_rcp_f64_e32 v[22:23], v[20:21]
	v_fma_f64 v[24:25], -v[20:21], v[22:23], 1.0
	v_fma_f64 v[22:23], v[24:25], v[22:23], v[22:23]
	v_fma_f64 v[24:25], -v[20:21], v[22:23], 1.0
	v_fma_f64 v[22:23], v[24:25], v[22:23], v[22:23]
	v_mul_f64 v[24:25], v[18:19], v[22:23]
	v_mul_f64 v[26:27], v[20:21], v[24:25]
	v_fma_f64 v[20:21], v[24:25], v[20:21], -v[26:27]
	v_fma_f64 v[8:9], v[24:25], v[8:9], v[20:21]
	v_add_f64 v[20:21], v[26:27], v[8:9]
	v_add_f64 v[28:29], v[18:19], -v[20:21]
	v_add_f64 v[26:27], v[20:21], -v[26:27]
	;; [unrolled: 1-line block ×4, first 2 shown]
	v_cvt_f64_i32_e32 v[26:27], v30
	v_add_f64 v[18:19], v[18:19], -v[20:21]
	v_add_f64 v[8:9], v[8:9], v[18:19]
	v_add_f64 v[8:9], v[28:29], v[8:9]
	v_mul_f64 v[8:9], v[22:23], v[8:9]
	v_add_f64 v[18:19], v[24:25], v[8:9]
	v_add_f64 v[20:21], v[18:19], -v[24:25]
	v_add_f64 v[8:9], v[8:9], -v[20:21]
	v_mul_f64 v[20:21], v[18:19], v[18:19]
	v_add_f64 v[24:25], v[8:9], v[8:9]
	v_fma_f64 v[22:23], v[18:19], v[18:19], -v[20:21]
	v_ldexp_f64 v[32:33], v[8:9], 1
	v_fma_f64 v[22:23], v[18:19], v[24:25], v[22:23]
	v_add_f64 v[24:25], v[20:21], v[22:23]
	v_add_f64 v[20:21], v[24:25], -v[20:21]
	v_mul_f64 v[34:35], v[18:19], v[24:25]
	v_add_f64 v[20:21], v[22:23], -v[20:21]
	buffer_load_dword v22, off, s[96:99], 0 offset:504 ; 4-byte Folded Reload
	buffer_load_dword v23, off, s[96:99], 0 offset:508 ; 4-byte Folded Reload
	v_fma_f64 v[36:37], v[24:25], v[18:19], -v[34:35]
	v_fma_f64 v[8:9], v[24:25], v[8:9], v[36:37]
	v_fma_f64 v[8:9], v[20:21], v[18:19], v[8:9]
	s_waitcnt vmcnt(0)
	v_fma_f64 v[22:23], v[24:25], s[4:5], v[22:23]
	s_mov_b32 s4, 0x3abe935a
	s_mov_b32 s5, 0x3fbe25e4
	v_fma_f64 v[22:23], v[24:25], v[22:23], s[4:5]
	s_mov_b32 s4, 0x47e6c9c2
	s_mov_b32 s5, 0x3fc110ef
	;; [unrolled: 3-line block ×6, first 2 shown]
	v_fma_f64 v[22:23], v[24:25], v[22:23], s[4:5]
	s_mov_b32 s5, s73
	v_writelane_b32 v63, s4, 20
	v_writelane_b32 v63, s5, 21
	v_fma_f64 v[22:23], v[24:25], v[22:23], s[0:1]
	s_mov_b32 s0, 0xfefa39ef
	s_mov_b32 s1, 0x3fe62e42
	v_mul_f64 v[28:29], v[26:27], s[0:1]
	v_fma_f64 v[30:31], v[26:27], s[0:1], -v[28:29]
	s_mov_b32 s0, 0x3b39803f
	s_mov_b32 s1, 0x3c7abc9e
	v_fma_f64 v[26:27], v[26:27], s[0:1], v[30:31]
	s_mov_b32 s0, 0
	s_mov_b32 s1, 0x7ff00000
	v_add_f64 v[30:31], v[28:29], v[26:27]
	v_add_f64 v[28:29], v[30:31], -v[28:29]
	v_add_f64 v[26:27], v[26:27], -v[28:29]
	v_ldexp_f64 v[28:29], v[18:19], 1
	v_add_f64 v[18:19], v[34:35], v[8:9]
	v_add_f64 v[34:35], v[18:19], -v[34:35]
	v_add_f64 v[8:9], v[8:9], -v[34:35]
	v_mul_f64 v[34:35], v[24:25], v[22:23]
	v_fma_f64 v[24:25], v[24:25], v[22:23], -v[34:35]
	v_fma_f64 v[20:21], v[20:21], v[22:23], v[24:25]
	v_add_f64 v[22:23], v[34:35], v[20:21]
	v_add_f64 v[24:25], v[22:23], -v[34:35]
	v_add_f64 v[20:21], v[20:21], -v[24:25]
	v_add_f64 v[24:25], v[22:23], s[2:3]
	v_readlane_b32 s2, v63, 8
	v_readlane_b32 s3, v63, 9
	s_mov_b32 s2, s30
	s_mov_b32 s5, s3
	v_writelane_b32 v63, s4, 8
	v_writelane_b32 v63, s5, 9
	v_cmp_class_f64_e64 s[4:5], v[14:15], s44
	v_add_f64 v[34:35], v[24:25], s[2:3]
	s_mov_b32 s2, 0xd5df274d
	s_mov_b32 s3, 0x3c8543b0
	v_add_f64 v[20:21], v[20:21], s[2:3]
	v_add_f64 v[22:23], v[22:23], -v[34:35]
	v_add_f64 v[20:21], v[20:21], v[22:23]
	v_add_f64 v[22:23], v[24:25], v[20:21]
	v_add_f64 v[24:25], v[24:25], -v[22:23]
	v_add_f64 v[20:21], v[20:21], v[24:25]
	v_mul_f64 v[24:25], v[18:19], v[22:23]
	v_fma_f64 v[34:35], v[18:19], v[22:23], -v[24:25]
	v_fma_f64 v[18:19], v[18:19], v[20:21], v[34:35]
	v_fma_f64 v[8:9], v[8:9], v[22:23], v[18:19]
	v_add_f64 v[18:19], v[24:25], v[8:9]
	v_add_f64 v[20:21], v[18:19], -v[24:25]
	v_add_f64 v[8:9], v[8:9], -v[20:21]
	v_add_f64 v[20:21], v[28:29], v[18:19]
	v_add_f64 v[8:9], v[32:33], v[8:9]
	v_add_f64 v[22:23], v[20:21], -v[28:29]
	v_add_f64 v[18:19], v[18:19], -v[22:23]
	v_add_f64 v[8:9], v[8:9], v[18:19]
	;; [unrolled: 4-line block ×3, first 2 shown]
	v_add_f64 v[22:23], v[20:21], -v[30:31]
	v_add_f64 v[24:25], v[20:21], -v[22:23]
	;; [unrolled: 1-line block ×3, first 2 shown]
	v_add_f64 v[22:23], v[26:27], v[8:9]
	v_add_f64 v[24:25], v[30:31], -v[24:25]
	v_add_f64 v[18:19], v[18:19], v[24:25]
	v_add_f64 v[24:25], v[22:23], -v[26:27]
	;; [unrolled: 2-line block ×3, first 2 shown]
	v_add_f64 v[8:9], v[8:9], -v[24:25]
	v_add_f64 v[22:23], v[20:21], v[18:19]
	v_add_f64 v[26:27], v[26:27], -v[28:29]
	v_add_f64 v[20:21], v[22:23], -v[20:21]
	v_add_f64 v[8:9], v[8:9], v[26:27]
	v_add_f64 v[18:19], v[18:19], -v[20:21]
	v_add_f64 v[8:9], v[8:9], v[18:19]
	v_add_f64 v[18:19], v[22:23], v[8:9]
	v_add_f64 v[20:21], v[18:19], -v[22:23]
	v_add_f64 v[20:21], v[8:9], -v[20:21]
	v_mul_f64 v[8:9], v[16:17], v[18:19]
	v_fma_f64 v[22:23], v[16:17], v[18:19], -v[8:9]
	v_cmp_class_f64_e64 vcc, v[8:9], s44
	v_fma_f64 v[22:23], v[16:17], v[20:21], v[22:23]
	v_add_f64 v[24:25], v[8:9], v[22:23]
	v_add_f64 v[26:27], v[24:25], -v[8:9]
	v_cndmask_b32_e32 v9, v25, v9, vcc
	v_cndmask_b32_e32 v8, v24, v8, vcc
	v_cmp_neq_f64_e64 vcc, |v[8:9]|, s[0:1]
	v_readlane_b32 s0, v63, 10
	v_readlane_b32 s1, v63, 11
	v_mul_f64 v[24:25], v[8:9], s[0:1]
	v_readlane_b32 s0, v63, 14
	v_add_f64 v[22:23], v[22:23], -v[26:27]
	v_readlane_b32 s1, v63, 15
	v_rndne_f64_e32 v[24:25], v[24:25]
	v_cndmask_b32_e32 v23, 0, v23, vcc
	v_cndmask_b32_e32 v22, 0, v22, vcc
	v_fma_f64 v[26:27], v[24:25], s[68:69], v[8:9]
	v_fma_f64 v[26:27], v[24:25], s[0:1], v[26:27]
	s_mov_b32 s0, 0x6a5dcb37
	s_mov_b32 s1, 0x3e5ade15
	v_cvt_i32_f64_e32 v24, v[24:25]
	v_fma_f64 v[28:29], v[26:27], s[0:1], v[12:13]
	s_mov_b32 s0, 0x623fde64
	s_mov_b32 s1, 0x3ec71dee
	v_fma_f64 v[28:29], v[26:27], v[28:29], s[0:1]
	s_mov_b32 s0, 0x7c89e6b0
	s_mov_b32 s1, 0x3efa0199
	;; [unrolled: 3-line block ×4, first 2 shown]
	v_fma_f64 v[28:29], v[26:27], v[28:29], s[0:1]
	v_readlane_b32 s0, v63, 16
	v_readlane_b32 s1, v63, 17
	v_fma_f64 v[28:29], v[26:27], v[28:29], s[0:1]
	v_readlane_b32 s0, v63, 18
	v_readlane_b32 s1, v63, 19
	v_fma_f64 v[28:29], v[26:27], v[28:29], s[0:1]
	s_mov_b32 s0, 0x55555511
	s_mov_b32 s1, 0x3fc55555
	v_fma_f64 v[28:29], v[26:27], v[28:29], s[0:1]
	s_mov_b32 s0, 11
	s_mov_b32 s1, 0x3fe00000
	;; [unrolled: 3-line block ×3, first 2 shown]
	v_cmp_nlt_f64_e32 vcc, s[0:1], v[8:9]
	s_mov_b32 s0, 0
	s_mov_b32 s1, 0xc090cc00
	v_cmp_ngt_f64_e64 s[2:3], s[0:1], v[8:9]
	v_cmp_gt_f64_e64 s[0:1], 0, v[14:15]
	v_fma_f64 v[28:29], v[26:27], v[28:29], 1.0
	v_writelane_b32 v63, s0, 38
	v_fma_f64 v[26:27], v[26:27], v[28:29], 1.0
	v_writelane_b32 v63, s1, 39
	v_ldexp_f64 v[24:25], v[26:27], v24
	v_cndmask_b32_e32 v25, v39, v25, vcc
	s_and_b64 vcc, s[2:3], vcc
	v_cndmask_b32_e32 v8, 0, v24, vcc
	v_cndmask_b32_e64 v9, 0, v25, s[2:3]
	v_fma_f64 v[22:23], v[8:9], v[22:23], v[8:9]
	v_cmp_class_f64_e64 vcc, v[8:9], s44
	v_cndmask_b32_e32 v24, v22, v8, vcc
	v_cndmask_b32_e32 v25, v23, v9, vcc
	v_trunc_f64_e32 v[8:9], v[16:17]
	v_cmp_eq_f64_e32 vcc, v[8:9], v[16:17]
	v_mul_f64 v[8:9], v[16:17], 0.5
	v_trunc_f64_e32 v[22:23], v[8:9]
	v_cmp_neq_f64_e64 s[2:3], v[22:23], v[8:9]
	v_cndmask_b32_e32 v9, 0, v24, vcc
	s_and_b64 s[2:3], vcc, s[2:3]
	v_cndmask_b32_e64 v8, v40, v15, s[2:3]
	v_bfi_b32 v8, s14, v25, v8
	v_cndmask_b32_e32 v17, v61, v8, vcc
	v_cmp_eq_f64_e32 vcc, 0, v[14:15]
	v_cndmask_b32_e64 v17, v8, v17, s[0:1]
	v_cndmask_b32_e64 v8, v24, v9, s[0:1]
	;; [unrolled: 1-line block ×3, first 2 shown]
	v_cmp_u_f64_e64 s[2:3], v[14:15], v[14:15]
	v_cndmask_b32_e64 v28, v39, 0, vcc
	s_or_b64 s[0:1], vcc, s[4:5]
	v_bfi_b32 v9, s14, v28, v9
	v_cndmask_b32_e64 v8, v8, 0, s[0:1]
	v_cndmask_b32_e64 v9, v17, v9, s[0:1]
	v_div_scale_f64 v[22:23], s[8:9], v[8:9], v[8:9], s[74:75]
	s_mov_b32 s4, 0
	s_mov_b32 s5, 0x7ff00000
	;; [unrolled: 1-line block ×4, first 2 shown]
	v_rcp_f64_e32 v[24:25], v[22:23]
	v_fma_f64 v[26:27], -v[22:23], v[24:25], 1.0
	v_fma_f64 v[24:25], v[24:25], v[26:27], v[24:25]
	v_fma_f64 v[26:27], -v[22:23], v[24:25], 1.0
	v_fma_f64 v[24:25], v[24:25], v[26:27], v[24:25]
	v_div_scale_f64 v[26:27], vcc, s[74:75], v[8:9], s[74:75]
	v_mul_f64 v[29:30], v[26:27], v[24:25]
	v_fma_f64 v[22:23], -v[22:23], v[29:30], v[26:27]
	s_nop 1
	v_div_fmas_f64 v[22:23], v[22:23], v[24:25], v[29:30]
	buffer_load_dword v24, off, s[96:99], 0 ; 4-byte Folded Reload
	buffer_load_dword v25, off, s[96:99], 0 offset:4 ; 4-byte Folded Reload
	v_div_fixup_f64 v[8:9], v[22:23], v[8:9], s[74:75]
	v_readlane_b32 s74, v63, 46
	v_readlane_b32 s75, v63, 47
	v_cndmask_b32_e64 v22, v8, 0, s[2:3]
	v_mov_b32_e32 v8, 0x3fd00000
	v_cndmask_b32_e64 v34, v8, v40, s[74:75]
	v_cndmask_b32_e64 v23, v9, v61, s[2:3]
	s_waitcnt vmcnt(1)
	v_mov_b32_e32 v33, v24
	v_mul_f64 v[8:9], v[33:34], v[18:19]
	s_waitcnt vmcnt(0)
	v_fma_f64 v[24:25], v[33:34], v[18:19], -v[8:9]
	v_cmp_class_f64_e64 vcc, v[8:9], s44
	v_fma_f64 v[24:25], v[33:34], v[20:21], v[24:25]
	v_add_f64 v[26:27], v[8:9], v[24:25]
	v_add_f64 v[29:30], v[26:27], -v[8:9]
	v_cndmask_b32_e32 v9, v27, v9, vcc
	v_cndmask_b32_e32 v8, v26, v8, vcc
	v_cmp_neq_f64_e64 vcc, |v[8:9]|, s[4:5]
	v_readlane_b32 s4, v63, 10
	v_readlane_b32 s5, v63, 11
	v_mul_f64 v[26:27], v[8:9], s[4:5]
	v_readlane_b32 s4, v63, 14
	v_add_f64 v[24:25], v[24:25], -v[29:30]
	v_readlane_b32 s5, v63, 15
	v_rndne_f64_e32 v[26:27], v[26:27]
	v_cndmask_b32_e32 v25, 0, v25, vcc
	v_cndmask_b32_e32 v24, 0, v24, vcc
	v_fma_f64 v[29:30], v[26:27], s[68:69], v[8:9]
	v_cvt_i32_f64_e32 v17, v[26:27]
	v_readlane_b32 s68, v63, 38
	v_readlane_b32 s69, v63, 39
	v_fma_f64 v[29:30], v[26:27], s[4:5], v[29:30]
	v_fma_f64 v[31:32], v[29:30], s[8:9], v[12:13]
	s_mov_b32 s8, 0x623fde64
	s_mov_b32 s9, 0x3ec71dee
	v_fma_f64 v[31:32], v[29:30], v[31:32], s[8:9]
	s_mov_b32 s8, 0x7c89e6b0
	s_mov_b32 s9, 0x3efa0199
	;; [unrolled: 3-line block ×4, first 2 shown]
	v_fma_f64 v[31:32], v[29:30], v[31:32], s[8:9]
	v_readlane_b32 s8, v63, 16
	v_readlane_b32 s9, v63, 17
	v_fma_f64 v[31:32], v[29:30], v[31:32], s[8:9]
	v_readlane_b32 s8, v63, 18
	v_readlane_b32 s9, v63, 19
	v_writelane_b32 v63, s0, 40
	v_writelane_b32 v63, s1, 41
	;; [unrolled: 1-line block ×4, first 2 shown]
	v_fma_f64 v[31:32], v[29:30], v[31:32], s[8:9]
	s_mov_b32 s8, 0x55555511
	s_mov_b32 s9, 0x3fc55555
	v_fma_f64 v[31:32], v[29:30], v[31:32], s[8:9]
	s_mov_b32 s8, 11
	s_mov_b32 s9, 0x3fe00000
	v_fma_f64 v[31:32], v[29:30], v[31:32], s[8:9]
	s_mov_b32 s8, 0
	s_mov_b32 s9, 0x40900000
	v_cmp_nlt_f64_e32 vcc, s[8:9], v[8:9]
	s_mov_b32 s8, 0
	s_mov_b32 s9, 0xc090cc00
	v_cmp_ngt_f64_e64 s[8:9], s[8:9], v[8:9]
	v_fma_f64 v[31:32], v[29:30], v[31:32], 1.0
	v_fma_f64 v[29:30], v[29:30], v[31:32], 1.0
	v_ldexp_f64 v[26:27], v[29:30], v17
	v_cndmask_b32_e32 v17, v39, v27, vcc
	s_and_b64 vcc, s[8:9], vcc
	v_cndmask_b32_e32 v8, 0, v26, vcc
	v_cndmask_b32_e64 v9, 0, v17, s[8:9]
	v_fma_f64 v[24:25], v[8:9], v[24:25], v[8:9]
	v_cmp_class_f64_e64 vcc, v[8:9], s44
	v_cndmask_b32_e32 v17, v24, v8, vcc
	v_cndmask_b32_e32 v26, v25, v9, vcc
	v_trunc_f64_e32 v[8:9], v[33:34]
	v_cmp_eq_f64_e32 vcc, v[8:9], v[33:34]
	v_mov_b32_e32 v8, v33
	buffer_store_dword v8, off, s[96:99], 0 ; 4-byte Folded Spill
	s_nop 0
	buffer_store_dword v9, off, s[96:99], 0 offset:4 ; 4-byte Folded Spill
	v_mul_f64 v[8:9], v[33:34], 0.5
	v_trunc_f64_e32 v[24:25], v[8:9]
	v_cmp_neq_f64_e64 s[8:9], v[24:25], v[8:9]
	v_cndmask_b32_e32 v9, 0, v17, vcc
	s_and_b64 s[8:9], vcc, s[8:9]
	v_cndmask_b32_e64 v8, v40, v15, s[8:9]
	v_bfi_b32 v8, s14, v26, v8
	v_cndmask_b32_e32 v24, v61, v8, vcc
	v_cndmask_b32_e64 v24, v8, v24, s[68:69]
	v_cndmask_b32_e64 v8, v17, v9, s[68:69]
	;; [unrolled: 1-line block ×3, first 2 shown]
	v_bfi_b32 v9, s14, v28, v9
	v_cndmask_b32_e64 v8, v8, 0, s[0:1]
	v_cndmask_b32_e64 v9, v24, v9, s[0:1]
	s_mov_b32 s0, 0x9999999c
	s_mov_b32 s1, 0x3fd99999
	;; [unrolled: 1-line block ×4, first 2 shown]
	v_div_scale_f64 v[24:25], s[68:69], v[8:9], v[8:9], s[8:9]
	s_mov_b32 s68, 0xd1b717
	s_mov_b32 s69, 0x3fe102de
	;; [unrolled: 1-line block ×4, first 2 shown]
	v_rcp_f64_e32 v[26:27], v[24:25]
	v_fma_f64 v[29:30], -v[24:25], v[26:27], 1.0
	v_fma_f64 v[26:27], v[26:27], v[29:30], v[26:27]
	v_fma_f64 v[29:30], -v[24:25], v[26:27], 1.0
	v_fma_f64 v[26:27], v[26:27], v[29:30], v[26:27]
	v_div_scale_f64 v[29:30], vcc, s[8:9], v[8:9], s[8:9]
	v_mul_f64 v[31:32], v[29:30], v[26:27]
	v_fma_f64 v[24:25], -v[24:25], v[31:32], v[29:30]
	s_nop 1
	v_div_fmas_f64 v[24:25], v[24:25], v[26:27], v[31:32]
	v_div_fixup_f64 v[8:9], v[24:25], v[8:9], s[8:9]
	s_mov_b32 s8, 0
	s_brev_b32 s9, 8
	v_cmp_gt_f64_e32 vcc, s[8:9], v[14:15]
	v_add_f64 v[8:9], v[8:9], 1.0
	v_cndmask_b32_e64 v24, v8, 0, s[2:3]
	v_cndmask_b32_e32 v8, 0, v38, vcc
	v_cndmask_b32_e64 v25, v9, v61, s[2:3]
	v_ldexp_f64 v[8:9], v[14:15], v8
	v_cndmask_b32_e32 v14, 0, v44, vcc
	v_readlane_b32 s2, v63, 18
	v_readlane_b32 s3, v63, 19
	v_rsq_f64_e32 v[26:27], v[8:9]
	v_cmp_class_f64_e32 vcc, v[8:9], v45
	v_mul_f64 v[29:30], v[8:9], v[26:27]
	v_mul_f64 v[26:27], v[26:27], 0.5
	v_fma_f64 v[31:32], -v[26:27], v[29:30], 0.5
	v_fma_f64 v[29:30], v[29:30], v[31:32], v[29:30]
	v_fma_f64 v[26:27], v[26:27], v[31:32], v[26:27]
	v_fma_f64 v[33:34], -v[29:30], v[29:30], v[8:9]
	v_fma_f64 v[29:30], v[33:34], v[26:27], v[29:30]
	v_fma_f64 v[31:32], -v[29:30], v[29:30], v[8:9]
	v_fma_f64 v[26:27], v[31:32], v[26:27], v[29:30]
	v_ldexp_f64 v[26:27], v[26:27], v14
	v_mov_b32_e32 v14, 0x3fd55555
	v_cndmask_b32_e64 v17, v14, v40, s[74:75]
	s_mov_b32 s74, 0
	s_mov_b32 s75, 0x7ff00000
	v_cndmask_b32_e32 v9, v27, v9, vcc
	v_cndmask_b32_e32 v8, v26, v8, vcc
	v_div_scale_f64 v[26:27], s[8:9], v[8:9], v[8:9], s[68:69]
	v_readlane_b32 s8, v63, 10
	v_readlane_b32 s9, v63, 11
	v_rcp_f64_e32 v[29:30], v[26:27]
	v_fma_f64 v[31:32], -v[26:27], v[29:30], 1.0
	v_fma_f64 v[29:30], v[29:30], v[31:32], v[29:30]
	v_fma_f64 v[31:32], -v[26:27], v[29:30], 1.0
	v_fma_f64 v[29:30], v[29:30], v[31:32], v[29:30]
	v_div_scale_f64 v[31:32], vcc, s[68:69], v[8:9], s[68:69]
	v_mul_f64 v[33:34], v[31:32], v[29:30]
	v_fma_f64 v[26:27], -v[26:27], v[33:34], v[31:32]
	s_nop 1
	v_div_fmas_f64 v[26:27], v[26:27], v[29:30], v[33:34]
	v_div_fixup_f64 v[8:9], v[26:27], v[8:9], s[68:69]
	s_mov_b64 s[68:69], s[4:5]
	v_readlane_b32 s4, v63, 16
	v_readlane_b32 s5, v63, 17
	v_add_f64 v[8:9], v[8:9], v[24:25]
	v_mul_f64 v[8:9], v[22:23], v[8:9]
	v_mul_f64 v[22:23], v[16:17], v[18:19]
	v_fma_f64 v[18:19], v[16:17], v[18:19], -v[22:23]
	v_cmp_class_f64_e64 vcc, v[22:23], s44
	v_fma_f64 v[18:19], v[16:17], v[20:21], v[18:19]
	v_add_f64 v[20:21], v[22:23], v[18:19]
	v_add_f64 v[24:25], v[20:21], -v[22:23]
	v_cndmask_b32_e32 v21, v21, v23, vcc
	v_cndmask_b32_e32 v20, v20, v22, vcc
	v_mul_f64 v[22:23], v[20:21], s[8:9]
	v_readlane_b32 s8, v63, 12
	v_readlane_b32 s9, v63, 13
	v_cmp_neq_f64_e64 vcc, |v[20:21]|, s[0:1]
	s_mov_b32 s0, 0x6a5dcb37
	v_add_f64 v[18:19], v[18:19], -v[24:25]
	s_mov_b32 s1, 0x3e5ade15
	v_rndne_f64_e32 v[22:23], v[22:23]
	v_cndmask_b32_e32 v19, 0, v19, vcc
	v_cndmask_b32_e32 v18, 0, v18, vcc
	v_fma_f64 v[24:25], v[22:23], s[8:9], v[20:21]
	v_cvt_i32_f64_e32 v14, v[22:23]
	v_fma_f64 v[24:25], v[22:23], s[68:69], v[24:25]
	v_fma_f64 v[26:27], v[24:25], s[0:1], v[12:13]
	s_mov_b32 s0, 0x623fde64
	s_mov_b32 s1, 0x3ec71dee
	v_fma_f64 v[26:27], v[24:25], v[26:27], s[0:1]
	s_mov_b32 s0, 0x7c89e6b0
	s_mov_b32 s1, 0x3efa0199
	;; [unrolled: 3-line block ×5, first 2 shown]
	v_fma_f64 v[26:27], v[24:25], v[26:27], s[4:5]
	v_fma_f64 v[26:27], v[24:25], v[26:27], s[2:3]
	;; [unrolled: 1-line block ×3, first 2 shown]
	s_mov_b32 s0, 11
	s_mov_b32 s1, 0x3fe00000
	v_fma_f64 v[26:27], v[24:25], v[26:27], s[0:1]
	s_mov_b32 s0, 0
	s_mov_b32 s1, 0x40900000
	v_cmp_nlt_f64_e32 vcc, s[0:1], v[20:21]
	s_mov_b32 s0, 0
	s_mov_b32 s1, 0xc090cc00
	v_cmp_ngt_f64_e64 s[0:1], s[0:1], v[20:21]
	v_fma_f64 v[26:27], v[24:25], v[26:27], 1.0
	v_fma_f64 v[24:25], v[24:25], v[26:27], 1.0
	v_ldexp_f64 v[22:23], v[24:25], v14
	v_cndmask_b32_e32 v14, v39, v23, vcc
	s_and_b64 vcc, s[0:1], vcc
	v_cndmask_b32_e32 v20, 0, v22, vcc
	v_cndmask_b32_e64 v21, 0, v14, s[0:1]
	v_fma_f64 v[18:19], v[20:21], v[18:19], v[20:21]
	v_cmp_class_f64_e64 vcc, v[20:21], s44
	v_cndmask_b32_e32 v14, v18, v20, vcc
	v_cndmask_b32_e32 v20, v19, v21, vcc
	v_trunc_f64_e32 v[18:19], v[16:17]
	v_cmp_eq_f64_e32 vcc, v[18:19], v[16:17]
	v_mul_f64 v[16:17], v[16:17], 0.5
	v_trunc_f64_e32 v[18:19], v[16:17]
	v_cmp_neq_f64_e64 s[0:1], v[18:19], v[16:17]
	v_cndmask_b32_e32 v17, 0, v14, vcc
	s_and_b64 s[0:1], vcc, s[0:1]
	v_cndmask_b32_e64 v16, v40, v15, s[0:1]
	v_bfi_b32 v16, s14, v20, v16
	v_cndmask_b32_e32 v18, v61, v16, vcc
	v_readlane_b32 vcc_lo, v63, 38
	v_readlane_b32 vcc_hi, v63, 39
	v_cndmask_b32_e64 v15, 0, v15, s[0:1]
	v_readlane_b32 s0, v63, 40
	v_cndmask_b32_e32 v16, v16, v18, vcc
	v_cndmask_b32_e32 v14, v14, v17, vcc
	v_bfi_b32 v15, s14, v28, v15
	v_readlane_b32 s1, v63, 41
	v_cndmask_b32_e64 v14, v14, 0, s[0:1]
	v_cndmask_b32_e64 v15, v16, v15, s[0:1]
	s_mov_b32 s0, 0xc84b5dcc
	s_mov_b32 s1, 0xbffe3d07
	v_mul_f64 v[14:15], v[14:15], s[0:1]
	v_readlane_b32 s0, v63, 42
	v_readlane_b32 s1, v63, 43
	v_cndmask_b32_e64 v15, v15, v61, s[0:1]
	v_cndmask_b32_e64 v14, v14, 0, s[0:1]
	v_readlane_b32 s0, v63, 10
	v_readlane_b32 s1, v63, 11
	v_mul_f64 v[16:17], v[14:15], s[0:1]
	s_mov_b32 s0, 0x6a5dcb37
	s_mov_b32 s1, 0x3e5ade15
	v_rndne_f64_e32 v[16:17], v[16:17]
	v_fma_f64 v[18:19], v[16:17], s[8:9], v[14:15]
	v_fma_f64 v[18:19], v[16:17], s[68:69], v[18:19]
	v_cvt_i32_f64_e32 v16, v[16:17]
	v_fma_f64 v[20:21], v[18:19], s[0:1], v[12:13]
	s_mov_b32 s0, 0x623fde64
	s_mov_b32 s1, 0x3ec71dee
	v_fma_f64 v[20:21], v[18:19], v[20:21], s[0:1]
	s_mov_b32 s0, 0x7c89e6b0
	s_mov_b32 s1, 0x3efa0199
	;; [unrolled: 3-line block ×6, first 2 shown]
	v_mul_f64 v[2:3], v[2:3], s[4:5]
	v_fma_f64 v[20:21], v[18:19], v[20:21], s[2:3]
	s_mov_b32 s2, 0xf3a00000
	s_mov_b32 s3, 0x421beb9b
	v_fma_f64 v[20:21], v[18:19], v[20:21], s[0:1]
	s_mov_b32 s0, 11
	s_mov_b32 s1, 0x3fe00000
	;; [unrolled: 3-line block ×3, first 2 shown]
	v_cmp_nlt_f64_e32 vcc, s[0:1], v[14:15]
	s_mov_b32 s0, 0
	s_mov_b32 s1, 0xc090cc00
	v_cmp_ngt_f64_e64 s[0:1], s[0:1], v[14:15]
	v_fma_f64 v[20:21], v[18:19], v[20:21], 1.0
	v_fma_f64 v[18:19], v[18:19], v[20:21], 1.0
	v_ldexp_f64 v[16:17], v[18:19], v16
	v_cndmask_b32_e32 v17, v39, v17, vcc
	s_and_b64 vcc, s[0:1], vcc
	v_cndmask_b32_e32 v14, 0, v16, vcc
	v_cndmask_b32_e64 v15, 0, v17, s[0:1]
	v_mul_f64 v[8:9], v[8:9], v[14:15]
	v_mul_f64 v[4:5], v[8:9], v[4:5]
	v_div_scale_f64 v[8:9], s[0:1], s[2:3], s[2:3], v[2:3]
	v_rcp_f64_e32 v[14:15], v[8:9]
	v_fma_f64 v[16:17], -v[8:9], v[14:15], 1.0
	v_fma_f64 v[14:15], v[14:15], v[16:17], v[14:15]
	v_fma_f64 v[16:17], -v[8:9], v[14:15], 1.0
	v_fma_f64 v[14:15], v[14:15], v[16:17], v[14:15]
	v_div_scale_f64 v[16:17], vcc, v[2:3], s[2:3], v[2:3]
	v_mul_f64 v[18:19], v[16:17], v[14:15]
	v_fma_f64 v[8:9], -v[8:9], v[18:19], v[16:17]
	s_nop 1
	v_div_fmas_f64 v[8:9], v[8:9], v[14:15], v[18:19]
	v_div_fixup_f64 v[2:3], v[8:9], s[2:3], v[2:3]
	v_div_scale_f64 v[8:9], s[0:1], s[2:3], s[2:3], v[2:3]
	s_mov_b32 s0, 0xf3a00000
	s_mov_b32 s1, 0x421beb9b
	v_rcp_f64_e32 v[14:15], v[8:9]
	v_fma_f64 v[16:17], -v[8:9], v[14:15], 1.0
	v_fma_f64 v[14:15], v[14:15], v[16:17], v[14:15]
	v_fma_f64 v[16:17], -v[8:9], v[14:15], 1.0
	v_fma_f64 v[14:15], v[14:15], v[16:17], v[14:15]
	v_div_scale_f64 v[16:17], vcc, v[2:3], s[2:3], v[2:3]
	s_mov_b32 s2, 0x9cd9fbd6
	s_mov_b32 s3, 0x3ca3e5ba
	v_mul_f64 v[18:19], v[16:17], v[14:15]
	v_fma_f64 v[8:9], -v[8:9], v[18:19], v[16:17]
	v_div_fmas_f64 v[8:9], v[8:9], v[14:15], v[18:19]
	v_div_fixup_f64 v[2:3], v[8:9], s[0:1], v[2:3]
	v_mul_f64 v[8:9], v[10:11], s[4:5]
	v_readlane_b32 s4, v63, 18
	v_readlane_b32 s5, v63, 19
	v_div_scale_f64 v[14:15], s[0:1], s[2:3], s[2:3], v[8:9]
	v_rcp_f64_e32 v[16:17], v[14:15]
	v_fma_f64 v[18:19], -v[14:15], v[16:17], 1.0
	v_fma_f64 v[16:17], v[16:17], v[18:19], v[16:17]
	v_fma_f64 v[18:19], -v[14:15], v[16:17], 1.0
	v_fma_f64 v[16:17], v[16:17], v[18:19], v[16:17]
	v_div_scale_f64 v[18:19], vcc, v[8:9], s[2:3], v[8:9]
	v_mul_f64 v[20:21], v[18:19], v[16:17]
	v_fma_f64 v[14:15], -v[14:15], v[20:21], v[18:19]
	s_nop 1
	v_div_fmas_f64 v[14:15], v[14:15], v[16:17], v[20:21]
	v_div_fixup_f64 v[8:9], v[14:15], s[2:3], v[8:9]
	v_readlane_b32 s2, v63, 16
	v_readlane_b32 s3, v63, 17
	v_div_scale_f64 v[14:15], s[0:1], v[0:1], v[0:1], v[8:9]
	v_readlane_b32 s0, v63, 10
	v_readlane_b32 s1, v63, 11
	v_rcp_f64_e32 v[16:17], v[14:15]
	v_fma_f64 v[18:19], -v[14:15], v[16:17], 1.0
	v_fma_f64 v[16:17], v[16:17], v[18:19], v[16:17]
	v_fma_f64 v[18:19], -v[14:15], v[16:17], 1.0
	v_fma_f64 v[16:17], v[16:17], v[18:19], v[16:17]
	v_div_scale_f64 v[18:19], vcc, v[8:9], v[0:1], v[8:9]
	v_mul_f64 v[20:21], v[18:19], v[16:17]
	v_fma_f64 v[14:15], -v[14:15], v[20:21], v[18:19]
	s_nop 1
	v_div_fmas_f64 v[14:15], v[14:15], v[16:17], v[20:21]
	v_div_fixup_f64 v[0:1], v[14:15], v[0:1], v[8:9]
	v_mul_f64 v[8:9], v[0:1], s[0:1]
	s_mov_b32 s0, 0x6a5dcb37
	s_mov_b32 s1, 0x3e5ade15
	v_rndne_f64_e32 v[8:9], v[8:9]
	v_fma_f64 v[14:15], v[8:9], s[8:9], v[0:1]
	v_fma_f64 v[14:15], v[8:9], s[68:69], v[14:15]
	v_cvt_i32_f64_e32 v8, v[8:9]
	v_fma_f64 v[16:17], v[14:15], s[0:1], v[12:13]
	s_mov_b32 s0, 0x623fde64
	s_mov_b32 s1, 0x3ec71dee
	v_fma_f64 v[16:17], v[14:15], v[16:17], s[0:1]
	s_mov_b32 s0, 0x7c89e6b0
	s_mov_b32 s1, 0x3efa0199
	;; [unrolled: 3-line block ×5, first 2 shown]
	v_fma_f64 v[16:17], v[14:15], v[16:17], s[2:3]
	v_fma_f64 v[16:17], v[14:15], v[16:17], s[4:5]
	;; [unrolled: 1-line block ×3, first 2 shown]
	s_mov_b32 s0, 11
	s_mov_b32 s1, 0x3fe00000
	v_fma_f64 v[16:17], v[14:15], v[16:17], s[0:1]
	s_mov_b32 s0, 0
	s_mov_b32 s1, 0x40900000
	v_cmp_nlt_f64_e32 vcc, s[0:1], v[0:1]
	s_mov_b32 s0, 0
	s_mov_b32 s1, 0xc090cc00
	v_cmp_ngt_f64_e64 s[0:1], s[0:1], v[0:1]
	v_mov_b32_e32 v1, 0xbff00000
	v_fma_f64 v[16:17], v[14:15], v[16:17], 1.0
	v_fma_f64 v[14:15], v[14:15], v[16:17], 1.0
	v_ldexp_f64 v[8:9], v[14:15], v8
	v_add_f64 v[8:9], v[8:9], -1.0
	v_cndmask_b32_e32 v9, v39, v9, vcc
	s_and_b64 vcc, s[0:1], vcc
	v_cndmask_b32_e32 v0, 0, v8, vcc
	v_cndmask_b32_e64 v1, v1, v9, s[0:1]
	v_div_scale_f64 v[8:9], s[0:1], v[0:1], v[0:1], v[2:3]
	s_mov_b32 s0, 0
	s_mov_b32 s1, 0x41506738
	v_rcp_f64_e32 v[14:15], v[8:9]
	v_fma_f64 v[16:17], -v[8:9], v[14:15], 1.0
	v_fma_f64 v[14:15], v[14:15], v[16:17], v[14:15]
	v_fma_f64 v[16:17], -v[8:9], v[14:15], 1.0
	v_fma_f64 v[14:15], v[14:15], v[16:17], v[14:15]
	v_div_scale_f64 v[16:17], vcc, v[2:3], v[0:1], v[2:3]
	v_mul_f64 v[18:19], v[16:17], v[14:15]
	v_fma_f64 v[8:9], -v[8:9], v[18:19], v[16:17]
	s_nop 1
	v_div_fmas_f64 v[8:9], v[8:9], v[14:15], v[18:19]
	v_div_fixup_f64 v[0:1], v[8:9], v[0:1], v[2:3]
	buffer_load_dword v2, off, s[96:99], 0 offset:472 ; 4-byte Folded Reload
	buffer_load_dword v3, off, s[96:99], 0 offset:476 ; 4-byte Folded Reload
	s_waitcnt vmcnt(0)
	v_mul_f64 v[2:3], v[2:3], s[0:1]
	s_mov_b32 s0, 0
	s_mov_b32 s1, 0x410208e0
	v_mul_f64 v[2:3], v[2:3], s[0:1]
	v_mul_f64 v[2:3], v[2:3], v[4:5]
	v_div_scale_f64 v[4:5], s[0:1], v[0:1], v[0:1], v[2:3]
	v_rcp_f64_e32 v[8:9], v[4:5]
	v_fma_f64 v[14:15], -v[4:5], v[8:9], 1.0
	v_fma_f64 v[8:9], v[8:9], v[14:15], v[8:9]
	v_fma_f64 v[14:15], -v[4:5], v[8:9], 1.0
	v_fma_f64 v[8:9], v[8:9], v[14:15], v[8:9]
	v_div_scale_f64 v[14:15], vcc, v[2:3], v[0:1], v[2:3]
	v_mul_f64 v[16:17], v[14:15], v[8:9]
	v_fma_f64 v[4:5], -v[4:5], v[16:17], v[14:15]
	s_nop 1
	v_div_fmas_f64 v[4:5], v[4:5], v[8:9], v[16:17]
	buffer_load_dword v16, off, s[96:99], 0 offset:528 ; 4-byte Folded Reload
	buffer_load_dword v17, off, s[96:99], 0 offset:532 ; 4-byte Folded Reload
	v_div_fixup_f64 v[0:1], v[4:5], v[0:1], v[2:3]
	s_waitcnt vmcnt(0)
	v_fma_f64 v[16:17], -v[6:7], v[0:1], v[16:17]
	v_div_scale_f64 v[0:1], s[0:1], v[10:11], v[10:11], v[2:3]
	v_rcp_f64_e32 v[4:5], v[0:1]
	v_fma_f64 v[8:9], -v[0:1], v[4:5], 1.0
	v_fma_f64 v[4:5], v[4:5], v[8:9], v[4:5]
	v_fma_f64 v[8:9], -v[0:1], v[4:5], 1.0
	v_fma_f64 v[4:5], v[4:5], v[8:9], v[4:5]
	v_div_scale_f64 v[8:9], vcc, v[2:3], v[10:11], v[2:3]
	v_mul_f64 v[14:15], v[8:9], v[4:5]
	v_fma_f64 v[0:1], -v[0:1], v[14:15], v[8:9]
	s_nop 1
	v_div_fmas_f64 v[0:1], v[0:1], v[4:5], v[14:15]
	v_div_fixup_f64 v[0:1], v[0:1], v[10:11], v[2:3]
	v_div_scale_f64 v[2:3], s[0:1], v[10:11], v[10:11], v[0:1]
	v_rcp_f64_e32 v[4:5], v[2:3]
	v_fma_f64 v[8:9], -v[2:3], v[4:5], 1.0
	v_fma_f64 v[4:5], v[4:5], v[8:9], v[4:5]
	v_fma_f64 v[8:9], -v[2:3], v[4:5], 1.0
	v_fma_f64 v[4:5], v[4:5], v[8:9], v[4:5]
	v_div_scale_f64 v[8:9], vcc, v[0:1], v[10:11], v[0:1]
	v_mul_f64 v[14:15], v[8:9], v[4:5]
	v_fma_f64 v[2:3], -v[2:3], v[14:15], v[8:9]
	s_nop 1
	v_div_fmas_f64 v[2:3], v[2:3], v[4:5], v[14:15]
	v_div_fixup_f64 v[0:1], v[2:3], v[10:11], v[0:1]
	v_div_scale_f64 v[2:3], s[0:1], v[10:11], v[10:11], v[0:1]
	s_mov_b32 s0, 0x652b82fe
	s_mov_b32 s1, 0xbff71547
	v_rcp_f64_e32 v[4:5], v[2:3]
	v_fma_f64 v[8:9], -v[2:3], v[4:5], 1.0
	v_fma_f64 v[4:5], v[4:5], v[8:9], v[4:5]
	v_fma_f64 v[8:9], -v[2:3], v[4:5], 1.0
	v_fma_f64 v[4:5], v[4:5], v[8:9], v[4:5]
	v_div_scale_f64 v[8:9], vcc, v[0:1], v[10:11], v[0:1]
	v_mul_f64 v[14:15], v[8:9], v[4:5]
	v_fma_f64 v[2:3], -v[2:3], v[14:15], v[8:9]
	s_nop 1
	v_div_fmas_f64 v[2:3], v[2:3], v[4:5], v[14:15]
	v_div_fixup_f64 v[0:1], v[2:3], v[10:11], v[0:1]
	v_mul_f64 v[2:3], v[16:17], s[0:1]
	s_mov_b32 s0, 0x6a5dcb37
	s_mov_b32 s1, 0x3e5ade15
	v_rndne_f64_e32 v[2:3], v[2:3]
	v_fma_f64 v[4:5], v[2:3], s[8:9], -v[16:17]
	v_fma_f64 v[4:5], v[2:3], s[68:69], v[4:5]
	v_cvt_i32_f64_e32 v2, v[2:3]
	v_fma_f64 v[8:9], v[4:5], s[0:1], v[12:13]
	s_mov_b32 s0, 0x623fde64
	s_mov_b32 s1, 0x3ec71dee
	v_fma_f64 v[8:9], v[4:5], v[8:9], s[0:1]
	s_mov_b32 s0, 0x7c89e6b0
	s_mov_b32 s1, 0x3efa0199
	;; [unrolled: 3-line block ×5, first 2 shown]
	v_fma_f64 v[8:9], v[4:5], v[8:9], s[2:3]
	v_fma_f64 v[8:9], v[4:5], v[8:9], s[4:5]
	;; [unrolled: 1-line block ×3, first 2 shown]
	s_mov_b32 s0, 11
	s_mov_b32 s1, 0x3fe00000
	v_fma_f64 v[8:9], v[4:5], v[8:9], s[0:1]
	s_mov_b32 s0, 0
	s_mov_b32 s1, 0xc0900000
	v_cmp_ngt_f64_e32 vcc, s[0:1], v[16:17]
	buffer_store_dword v16, off, s[96:99], 0 offset:528 ; 4-byte Folded Spill
	s_nop 0
	buffer_store_dword v17, off, s[96:99], 0 offset:532 ; 4-byte Folded Spill
	s_mov_b32 s0, 0
	s_mov_b32 s1, 0x4090cc00
	v_fma_f64 v[8:9], v[4:5], v[8:9], 1.0
	v_fma_f64 v[4:5], v[4:5], v[8:9], 1.0
	v_ldexp_f64 v[2:3], v[4:5], v2
	v_cndmask_b32_e32 v3, v39, v3, vcc
	v_cmp_nlt_f64_e64 s[0:1], s[0:1], v[16:17]
	s_and_b64 vcc, s[0:1], vcc
	v_cndmask_b32_e32 v2, 0, v2, vcc
	v_cndmask_b32_e64 v3, 0, v3, s[0:1]
	v_mul_f64 v[0:1], v[0:1], v[2:3]
	buffer_load_dword v2, off, s[96:99], 0 offset:520 ; 4-byte Folded Reload
	buffer_load_dword v3, off, s[96:99], 0 offset:524 ; 4-byte Folded Reload
	s_xor_b64 s[0:1], exec, -1
	s_waitcnt vmcnt(0)
	v_fma_f64 v[18:19], -v[6:7], v[0:1], v[2:3]
.LBB1_78:                               ;   in Loop: Header=BB1_79 Depth=1
	v_readlane_b32 s2, v63, 36
	v_readlane_b32 s3, v63, 37
	s_or_b64 exec, exec, s[2:3]
	v_readlane_b32 s2, v63, 22
	s_and_b64 s[0:1], exec, s[0:1]
	v_readlane_b32 s3, v63, 23
	s_or_b64 s[2:3], s[0:1], s[2:3]
	v_writelane_b32 v63, s2, 22
	v_writelane_b32 v63, s3, 23
	s_andn2_b64 exec, exec, s[2:3]
	s_cbranch_execz .LBB1_174
.LBB1_79:                               ; =>This Loop Header: Depth=1
                                        ;     Child Loop BB1_81 Depth 2
                                        ;       Child Loop BB1_93 Depth 3
	s_mov_b64 s[0:1], 0
	v_writelane_b32 v63, s0, 36
	v_writelane_b32 v63, s1, 37
	buffer_store_dword v18, off, s[96:99], 0 offset:520 ; 4-byte Folded Spill
	s_nop 0
	buffer_store_dword v19, off, s[96:99], 0 offset:524 ; 4-byte Folded Spill
                                        ; implicit-def: $sgpr4_sgpr5
	s_branch .LBB1_81
.LBB1_80:                               ;   in Loop: Header=BB1_81 Depth=2
	s_or_b64 exec, exec, s[0:1]
	s_xor_b64 s[0:1], s[4:5], -1
	v_readlane_b32 s8, v63, 36
	s_and_b64 s[2:3], exec, s[2:3]
	v_readlane_b32 s9, v63, 37
	s_or_b64 s[8:9], s[2:3], s[8:9]
	v_readlane_b32 s2, v63, 38
	v_readlane_b32 s3, v63, 39
	s_andn2_b64 s[2:3], s[2:3], exec
	s_and_b64 s[0:1], s[0:1], exec
	v_writelane_b32 v63, s8, 36
	s_or_b64 s[4:5], s[2:3], s[0:1]
	v_writelane_b32 v63, s9, 37
	s_andn2_b64 exec, exec, s[8:9]
	s_cbranch_execz .LBB1_147
.LBB1_81:                               ;   Parent Loop BB1_79 Depth=1
                                        ; =>  This Loop Header: Depth=2
                                        ;       Child Loop BB1_93 Depth 3
	buffer_load_dword v2, off, s[96:99], 0 offset:24 ; 4-byte Folded Reload
	buffer_load_dword v3, off, s[96:99], 0 offset:28 ; 4-byte Folded Reload
	v_writelane_b32 v63, s4, 38
	v_writelane_b32 v63, s5, 39
	buffer_store_dword v56, off, s[96:99], 0 offset:472 ; 4-byte Folded Spill
	s_nop 0
	buffer_store_dword v57, off, s[96:99], 0 offset:476 ; 4-byte Folded Spill
                                        ; implicit-def: $vgpr17
                                        ; implicit-def: $vgpr4_vgpr5
	s_waitcnt vmcnt(2)
	v_trig_preop_f64 v[10:11], |v[2:3]|, 0
	v_trig_preop_f64 v[6:7], |v[2:3]|, 1
	;; [unrolled: 1-line block ×3, first 2 shown]
	v_cmp_nlt_f64_e64 s[2:3], |v[2:3]|, s[54:55]
	v_ldexp_f64 v[12:13], |v[2:3]|, s33
	v_and_b32_e32 v18, 0x7fffffff, v3
                                        ; implicit-def: $vgpr2_vgpr3
	s_and_saveexec_b64 s[0:1], s[2:3]
	s_xor_b64 s[4:5], exec, s[0:1]
	s_cbranch_execz .LBB1_83
; %bb.82:                               ;   in Loop: Header=BB1_81 Depth=2
	buffer_load_dword v2, off, s[96:99], 0 offset:24 ; 4-byte Folded Reload
	buffer_load_dword v3, off, s[96:99], 0 offset:28 ; 4-byte Folded Reload
	s_mov_b32 s58, s60
	s_mov_b32 s73, s53
	s_waitcnt vmcnt(0)
	v_cmp_ge_f64_e64 vcc, |v[2:3]|, s[56:57]
	v_cndmask_b32_e32 v9, v18, v13, vcc
	v_cndmask_b32_e32 v8, v2, v12, vcc
	v_mul_f64 v[16:17], v[10:11], v[8:9]
	v_mul_f64 v[2:3], v[6:7], v[8:9]
	;; [unrolled: 1-line block ×3, first 2 shown]
	v_fma_f64 v[19:20], v[10:11], v[8:9], -v[16:17]
	v_add_f64 v[21:22], v[2:3], v[19:20]
	v_add_f64 v[27:28], v[21:22], -v[2:3]
	v_add_f64 v[23:24], v[16:17], v[21:22]
	v_add_f64 v[19:20], v[19:20], -v[27:28]
	v_add_f64 v[27:28], v[21:22], -v[27:28]
	v_ldexp_f64 v[4:5], v[23:24], -2
	v_add_f64 v[27:28], v[2:3], -v[27:28]
	v_fract_f64_e32 v[14:15], v[4:5]
	v_cmp_neq_f64_e64 vcc, |v[4:5]|, s[74:75]
	v_add_f64 v[19:20], v[19:20], v[27:28]
	v_fma_f64 v[27:28], v[6:7], v[8:9], -v[2:3]
	v_add_f64 v[2:3], v[23:24], -v[16:17]
	v_ldexp_f64 v[14:15], v[14:15], 2
	v_fma_f64 v[8:9], v[0:1], v[8:9], -v[29:30]
	v_add_f64 v[31:32], v[29:30], v[27:28]
	v_add_f64 v[16:17], v[21:22], -v[2:3]
	v_cndmask_b32_e32 v5, 0, v15, vcc
	v_cndmask_b32_e32 v4, 0, v14, vcc
	v_add_f64 v[33:34], v[31:32], v[19:20]
	v_add_f64 v[2:3], v[16:17], v[33:34]
	v_add_f64 v[21:22], v[33:34], -v[31:32]
	v_add_f64 v[14:15], v[2:3], v[4:5]
	v_add_f64 v[19:20], v[19:20], -v[21:22]
	v_add_f64 v[21:22], v[33:34], -v[21:22]
	v_add_f64 v[16:17], v[2:3], -v[16:17]
	v_cmp_gt_f64_e32 vcc, 0, v[14:15]
	buffer_load_dword v14, off, s[96:99], 0 ; 4-byte Folded Reload
	buffer_load_dword v15, off, s[96:99], 0 offset:4 ; 4-byte Folded Reload
	v_add_f64 v[21:22], v[31:32], -v[21:22]
	v_add_f64 v[16:17], v[33:34], -v[16:17]
	v_add_f64 v[19:20], v[19:20], v[21:22]
	v_add_f64 v[21:22], v[31:32], -v[29:30]
	v_add_f64 v[23:24], v[27:28], -v[21:22]
	;; [unrolled: 1-line block ×4, first 2 shown]
	v_add_f64 v[21:22], v[23:24], v[21:22]
	v_add_f64 v[19:20], v[21:22], v[19:20]
	;; [unrolled: 1-line block ×4, first 2 shown]
	s_waitcnt vmcnt(1)
	v_mov_b32_e32 v19, v14
	v_mov_b32_e32 v14, 0x40100000
	v_cndmask_b32_e32 v20, 0, v14, vcc
	v_add_f64 v[4:5], v[4:5], v[19:20]
	s_waitcnt vmcnt(0)
	v_add_f64 v[14:15], v[2:3], v[4:5]
	v_cvt_i32_f64_e32 v16, v[14:15]
	v_cvt_f64_i32_e32 v[14:15], v16
	v_add_f64 v[4:5], v[4:5], -v[14:15]
	v_add_f64 v[14:15], v[2:3], v[4:5]
	v_add_f64 v[4:5], v[14:15], -v[4:5]
	v_cmp_le_f64_e32 vcc, 0.5, v[14:15]
	v_add_f64 v[2:3], v[2:3], -v[4:5]
	v_mov_b32_e32 v4, 0x3ff00000
	v_cndmask_b32_e32 v20, 0, v4, vcc
	v_mov_b32_e32 v4, v19
	buffer_store_dword v4, off, s[96:99], 0 ; 4-byte Folded Spill
	s_nop 0
	buffer_store_dword v5, off, s[96:99], 0 offset:4 ; 4-byte Folded Spill
	v_add_f64 v[4:5], v[14:15], -v[19:20]
	v_addc_co_u32_e64 v17, s[0:1], 0, v16, vcc
	v_add_f64 v[2:3], v[8:9], v[2:3]
	v_add_f64 v[8:9], v[4:5], v[2:3]
	v_add_f64 v[4:5], v[8:9], -v[4:5]
	v_add_f64 v[2:3], v[2:3], -v[4:5]
	v_mul_f64 v[4:5], v[8:9], s[58:59]
	v_fma_f64 v[14:15], v[8:9], s[58:59], -v[4:5]
	v_fma_f64 v[8:9], v[8:9], s[72:73], v[14:15]
	v_fma_f64 v[8:9], v[2:3], s[58:59], v[8:9]
	v_add_f64 v[2:3], v[4:5], v[8:9]
	v_add_f64 v[4:5], v[2:3], -v[4:5]
	v_add_f64 v[4:5], v[8:9], -v[4:5]
	s_andn2_saveexec_b64 s[0:1], s[4:5]
	s_cbranch_execz .LBB1_85
	s_branch .LBB1_84
.LBB1_83:                               ;   in Loop: Header=BB1_81 Depth=2
	s_andn2_saveexec_b64 s[0:1], s[4:5]
	s_cbranch_execz .LBB1_85
.LBB1_84:                               ;   in Loop: Header=BB1_81 Depth=2
	buffer_load_dword v4, off, s[96:99], 0 offset:24 ; 4-byte Folded Reload
	buffer_load_dword v5, off, s[96:99], 0 offset:28 ; 4-byte Folded Reload
	s_mov_b32 s52, s64
	s_waitcnt vmcnt(0)
	v_mul_f64 v[2:3], |v[4:5]|, s[62:63]
	v_rndne_f64_e32 v[8:9], v[2:3]
	v_fma_f64 v[2:3], v[8:9], s[60:61], |v[4:5]|
	v_mul_f64 v[4:5], v[8:9], s[64:65]
	v_fma_f64 v[19:20], v[8:9], s[64:65], v[2:3]
	v_add_f64 v[14:15], v[2:3], v[4:5]
	v_add_f64 v[16:17], v[2:3], -v[14:15]
	v_add_f64 v[14:15], v[14:15], -v[19:20]
	v_add_f64 v[2:3], v[16:17], v[4:5]
	v_fma_f64 v[4:5], v[8:9], s[52:53], v[4:5]
	v_cvt_i32_f64_e32 v17, v[8:9]
	v_add_f64 v[2:3], v[14:15], v[2:3]
	v_add_f64 v[2:3], v[2:3], -v[4:5]
	v_fma_f64 v[4:5], v[8:9], s[18:19], v[2:3]
	v_add_f64 v[2:3], v[19:20], v[4:5]
	v_add_f64 v[14:15], v[2:3], -v[19:20]
	v_add_f64 v[4:5], v[4:5], -v[14:15]
.LBB1_85:                               ;   in Loop: Header=BB1_81 Depth=2
	s_or_b64 exec, exec, s[0:1]
                                        ; implicit-def: $vgpr16
                                        ; implicit-def: $vgpr8_vgpr9
                                        ; implicit-def: $vgpr14_vgpr15
	s_and_saveexec_b64 s[0:1], s[2:3]
	s_xor_b64 s[2:3], exec, s[0:1]
	s_cbranch_execz .LBB1_87
; %bb.86:                               ;   in Loop: Header=BB1_81 Depth=2
	buffer_load_dword v8, off, s[96:99], 0 offset:24 ; 4-byte Folded Reload
	buffer_load_dword v9, off, s[96:99], 0 offset:28 ; 4-byte Folded Reload
	s_mov_b32 s58, s60
	s_mov_b32 s73, s53
	s_waitcnt vmcnt(0)
	v_cmp_ge_f64_e64 vcc, |v[8:9]|, s[56:57]
	v_cndmask_b32_e32 v13, v18, v13, vcc
	v_cndmask_b32_e32 v12, v8, v12, vcc
	v_mul_f64 v[18:19], v[10:11], v[12:13]
	v_mul_f64 v[14:15], v[6:7], v[12:13]
	v_fma_f64 v[20:21], v[10:11], v[12:13], -v[18:19]
	v_add_f64 v[22:23], v[14:15], v[20:21]
	v_add_f64 v[27:28], v[22:23], -v[14:15]
	v_add_f64 v[24:25], v[18:19], v[22:23]
	v_add_f64 v[20:21], v[20:21], -v[27:28]
	v_add_f64 v[27:28], v[22:23], -v[27:28]
	v_ldexp_f64 v[8:9], v[24:25], -2
	v_add_f64 v[27:28], v[14:15], -v[27:28]
	v_fma_f64 v[14:15], v[6:7], v[12:13], -v[14:15]
	v_add_f64 v[6:7], v[24:25], -v[18:19]
	v_fract_f64_e32 v[10:11], v[8:9]
	v_cmp_neq_f64_e64 vcc, |v[8:9]|, s[74:75]
	v_add_f64 v[20:21], v[20:21], v[27:28]
	v_mul_f64 v[27:28], v[0:1], v[12:13]
	v_add_f64 v[18:19], v[22:23], -v[6:7]
	v_ldexp_f64 v[10:11], v[10:11], 2
	v_add_f64 v[29:30], v[27:28], v[14:15]
	v_fma_f64 v[0:1], v[0:1], v[12:13], -v[27:28]
	v_cndmask_b32_e32 v9, 0, v11, vcc
	v_cndmask_b32_e32 v8, 0, v10, vcc
	v_add_f64 v[31:32], v[29:30], v[20:21]
	v_add_f64 v[6:7], v[18:19], v[31:32]
	v_add_f64 v[22:23], v[31:32], -v[29:30]
	v_add_f64 v[10:11], v[6:7], v[8:9]
	v_add_f64 v[20:21], v[20:21], -v[22:23]
	v_add_f64 v[22:23], v[31:32], -v[22:23]
	;; [unrolled: 1-line block ×3, first 2 shown]
	v_cmp_gt_f64_e32 vcc, 0, v[10:11]
	buffer_load_dword v10, off, s[96:99], 0 ; 4-byte Folded Reload
	buffer_load_dword v11, off, s[96:99], 0 offset:4 ; 4-byte Folded Reload
	v_add_f64 v[22:23], v[29:30], -v[22:23]
	v_add_f64 v[18:19], v[31:32], -v[18:19]
	v_add_f64 v[20:21], v[20:21], v[22:23]
	v_add_f64 v[22:23], v[29:30], -v[27:28]
	v_add_f64 v[14:15], v[14:15], -v[22:23]
	;; [unrolled: 1-line block ×4, first 2 shown]
	v_add_f64 v[14:15], v[14:15], v[22:23]
	v_add_f64 v[14:15], v[14:15], v[20:21]
	;; [unrolled: 1-line block ×4, first 2 shown]
	s_waitcnt vmcnt(1)
	v_mov_b32_e32 v13, v10
	v_mov_b32_e32 v10, 0x40100000
	v_cndmask_b32_e32 v14, 0, v10, vcc
	v_add_f64 v[8:9], v[8:9], v[13:14]
	s_waitcnt vmcnt(0)
	v_add_f64 v[10:11], v[6:7], v[8:9]
	v_cvt_i32_f64_e32 v12, v[10:11]
	v_cvt_f64_i32_e32 v[10:11], v12
	v_add_f64 v[8:9], v[8:9], -v[10:11]
	v_add_f64 v[10:11], v[6:7], v[8:9]
	v_add_f64 v[8:9], v[10:11], -v[8:9]
	v_cmp_le_f64_e32 vcc, 0.5, v[10:11]
	v_add_f64 v[6:7], v[6:7], -v[8:9]
	v_addc_co_u32_e64 v16, s[0:1], 0, v12, vcc
	v_add_f64 v[0:1], v[0:1], v[6:7]
	v_mov_b32_e32 v6, 0x3ff00000
	v_cndmask_b32_e32 v14, 0, v6, vcc
	v_mov_b32_e32 v6, v13
	buffer_store_dword v6, off, s[96:99], 0 ; 4-byte Folded Spill
	s_nop 0
	buffer_store_dword v7, off, s[96:99], 0 offset:4 ; 4-byte Folded Spill
	v_add_f64 v[6:7], v[10:11], -v[13:14]
	v_add_f64 v[8:9], v[6:7], v[0:1]
	v_add_f64 v[6:7], v[8:9], -v[6:7]
	v_add_f64 v[0:1], v[0:1], -v[6:7]
	v_mul_f64 v[6:7], v[8:9], s[58:59]
	v_fma_f64 v[10:11], v[8:9], s[58:59], -v[6:7]
	v_fma_f64 v[8:9], v[8:9], s[72:73], v[10:11]
	v_fma_f64 v[0:1], v[0:1], s[58:59], v[8:9]
	v_add_f64 v[8:9], v[6:7], v[0:1]
	v_add_f64 v[6:7], v[8:9], -v[6:7]
	v_add_f64 v[14:15], v[0:1], -v[6:7]
	s_andn2_saveexec_b64 s[0:1], s[2:3]
	s_cbranch_execnz .LBB1_88
	s_branch .LBB1_89
.LBB1_87:                               ;   in Loop: Header=BB1_81 Depth=2
	s_andn2_saveexec_b64 s[0:1], s[2:3]
	s_cbranch_execz .LBB1_89
.LBB1_88:                               ;   in Loop: Header=BB1_81 Depth=2
	buffer_load_dword v6, off, s[96:99], 0 offset:24 ; 4-byte Folded Reload
	buffer_load_dword v7, off, s[96:99], 0 offset:28 ; 4-byte Folded Reload
	s_mov_b32 s52, s64
	s_waitcnt vmcnt(0)
	v_mul_f64 v[0:1], |v[6:7]|, s[62:63]
	v_rndne_f64_e32 v[0:1], v[0:1]
	v_fma_f64 v[6:7], v[0:1], s[60:61], |v[6:7]|
	v_mul_f64 v[8:9], v[0:1], s[64:65]
	v_cvt_i32_f64_e32 v16, v[0:1]
	v_add_f64 v[10:11], v[6:7], v[8:9]
	v_add_f64 v[12:13], v[6:7], -v[10:11]
	v_fma_f64 v[6:7], v[0:1], s[64:65], v[6:7]
	v_add_f64 v[12:13], v[12:13], v[8:9]
	v_add_f64 v[10:11], v[10:11], -v[6:7]
	v_fma_f64 v[8:9], v[0:1], s[52:53], v[8:9]
	;; [unrolled: 3-line block ×3, first 2 shown]
	v_add_f64 v[8:9], v[6:7], v[10:11]
	v_add_f64 v[6:7], v[8:9], -v[6:7]
	v_add_f64 v[14:15], v[10:11], -v[6:7]
.LBB1_89:                               ;   in Loop: Header=BB1_81 Depth=2
	s_or_b64 exec, exec, s[0:1]
	v_and_b32_e32 v0, 1, v17
	v_cmp_eq_u32_e64 s[0:1], 0, v0
	v_mul_f64 v[0:1], v[2:3], v[2:3]
	s_mov_b32 s2, 0xb42fdfa7
	s_mov_b32 s3, 0xbe5ae600
	v_mov_b32_e32 v7, s3
	v_mov_b32_e32 v6, s2
	v_mul_f64 v[18:19], v[4:5], 0.5
	s_mov_b32 s44, s30
	buffer_load_dword v26, off, s[96:99], 0 offset:24 ; 4-byte Folded Reload
	buffer_load_dword v27, off, s[96:99], 0 offset:28 ; 4-byte Folded Reload
	v_fma_f64 v[12:13], v[0:1], s[36:37], v[6:7]
	v_mul_f64 v[10:11], v[2:3], -v[0:1]
	s_mov_b32 s2, 0x9037ab78
	s_mov_b32 s3, 0x3e21eeb6
	v_mul_f64 v[22:23], v[0:1], v[0:1]
	buffer_load_dword v28, off, s[96:99], 0 offset:56 ; 4-byte Folded Reload
	buffer_load_dword v29, off, s[96:99], 0 offset:60 ; 4-byte Folded Reload
	v_mov_b32_e32 v54, 0x7ff80000
	s_mov_b64 s[4:5], 0
	v_fma_f64 v[12:13], v[0:1], v[12:13], s[38:39]
	v_fma_f64 v[12:13], v[0:1], v[12:13], s[40:41]
	;; [unrolled: 1-line block ×4, first 2 shown]
	v_mul_f64 v[18:19], v[0:1], 0.5
	v_fma_f64 v[12:13], v[0:1], v[12:13], -v[4:5]
	v_add_f64 v[20:21], -v[18:19], 1.0
	v_fma_f64 v[10:11], v[10:11], s[44:45], v[12:13]
	v_add_f64 v[12:13], v[2:3], -v[10:11]
	v_mov_b32_e32 v11, s3
	v_mov_b32_e32 v10, s2
	v_fma_f64 v[24:25], v[0:1], s[22:23], v[10:11]
	v_fma_f64 v[24:25], v[0:1], v[24:25], s[24:25]
	;; [unrolled: 1-line block ×3, first 2 shown]
	s_waitcnt vmcnt(2)
	v_cmp_class_f64_e64 vcc, v[26:27], s6
	v_fma_f64 v[24:25], v[0:1], v[24:25], s[28:29]
	v_fma_f64 v[0:1], v[0:1], v[24:25], s[30:31]
	v_add_f64 v[24:25], -v[20:21], 1.0
	v_add_f64 v[18:19], v[24:25], -v[18:19]
	buffer_load_dword v24, off, s[96:99], 0 offset:32 ; 4-byte Folded Reload
	buffer_load_dword v25, off, s[96:99], 0 offset:36 ; 4-byte Folded Reload
	;; [unrolled: 1-line block ×8, first 2 shown]
	v_fma_f64 v[2:3], v[2:3], -v[4:5], v[18:19]
	v_mul_f64 v[4:5], v[8:9], v[8:9]
	v_mov_b32_e32 v19, 0x7ff80000
	v_fma_f64 v[0:1], v[22:23], v[0:1], v[2:3]
	v_lshlrev_b32_e32 v2, 30, v17
	v_xor_b32_e32 v2, v2, v27
	v_and_b32_e32 v2, 0x80000000, v2
	v_fma_f64 v[10:11], v[4:5], s[22:23], v[10:11]
	v_fma_f64 v[6:7], v[4:5], s[36:37], v[6:7]
	v_add_f64 v[0:1], v[20:21], v[0:1]
	v_fma_f64 v[10:11], v[4:5], v[10:11], s[24:25]
	v_fma_f64 v[6:7], v[4:5], v[6:7], s[38:39]
	v_cndmask_b32_e64 v1, v1, v13, s[0:1]
	v_xor_b32_e32 v1, v1, v2
	v_mul_f64 v[2:3], v[4:5], 0.5
	v_cndmask_b32_e64 v0, v0, v12, s[0:1]
	v_fma_f64 v[10:11], v[4:5], v[10:11], s[26:27]
	v_fma_f64 v[6:7], v[4:5], v[6:7], s[40:41]
	v_cndmask_b32_e32 v0, 0, v0, vcc
	v_cndmask_b32_e32 v1, v19, v1, vcc
	v_add_f64 v[12:13], -v[2:3], 1.0
	v_fma_f64 v[10:11], v[4:5], v[10:11], s[28:29]
	v_fma_f64 v[6:7], v[4:5], v[6:7], s[42:43]
	v_add_f64 v[17:18], -v[12:13], 1.0
	v_fma_f64 v[10:11], v[4:5], v[10:11], s[30:31]
	v_add_f64 v[2:3], v[17:18], -v[2:3]
	v_mul_f64 v[17:18], v[4:5], v[4:5]
	v_fma_f64 v[2:3], v[8:9], -v[14:15], v[2:3]
	v_fma_f64 v[2:3], v[17:18], v[10:11], v[2:3]
	v_mul_f64 v[10:11], v[8:9], -v[4:5]
	v_add_f64 v[2:3], v[12:13], v[2:3]
	v_mul_f64 v[12:13], v[14:15], 0.5
	v_fma_f64 v[6:7], v[10:11], v[6:7], v[12:13]
	v_fma_f64 v[4:5], v[4:5], v[6:7], -v[14:15]
	v_and_b32_e32 v6, 1, v16
	v_cmp_eq_u32_e64 s[0:1], 0, v6
	v_fma_f64 v[4:5], v[10:11], s[44:45], v[4:5]
	v_add_f64 v[4:5], v[8:9], -v[4:5]
	s_waitcnt vmcnt(6)
	v_add_f64 v[8:9], v[24:25], v[24:25]
	v_xor_b32_e32 v5, 0x80000000, v5
	v_cndmask_b32_e64 v2, v4, v2, s[0:1]
	v_lshlrev_b32_e32 v4, 30, v16
	v_cndmask_b32_e64 v3, v5, v3, s[0:1]
	v_and_b32_e32 v4, 0x80000000, v4
	v_xor_b32_e32 v3, v3, v4
	v_cndmask_b32_e32 v6, 0, v2, vcc
	v_cndmask_b32_e32 v7, v19, v3, vcc
	v_mul_f64 v[2:3], v[0:1], v[0:1]
	v_cmp_gt_f64_e64 s[0:1], s[50:51], v[0:1]
	v_mov_b32_e32 v4, 0x3c9cd2b2
	v_cndmask_b32_e64 v3, v3, v4, s[0:1]
	v_mov_b32_e32 v4, 0x97d889bc
	v_cndmask_b32_e64 v2, v2, v4, s[0:1]
	v_mul_f64 v[4:5], v[6:7], v[6:7]
	v_mul_f64 v[4:5], v[28:29], v[4:5]
	v_fma_f64 v[10:11], v[24:25], v[24:25], v[4:5]
	v_fma_f64 v[4:5], v[24:25], v[24:25], -v[8:9]
	v_add_f64 v[14:15], v[28:29], v[4:5]
	v_mul_f64 v[4:5], v[14:15], v[10:11]
	s_waitcnt vmcnt(4)
	v_mul_f64 v[14:15], v[14:15], -v[30:31]
	v_div_scale_f64 v[12:13], s[2:3], v[4:5], v[4:5], 1.0
	v_rcp_f64_e32 v[16:17], v[12:13]
	v_fma_f64 v[18:19], -v[12:13], v[16:17], 1.0
	v_fma_f64 v[16:17], v[16:17], v[18:19], v[16:17]
	v_fma_f64 v[18:19], -v[12:13], v[16:17], 1.0
	v_fma_f64 v[16:17], v[16:17], v[18:19], v[16:17]
	v_div_scale_f64 v[18:19], vcc, 1.0, v[4:5], 1.0
	v_mul_f64 v[20:21], v[18:19], v[16:17]
	v_fma_f64 v[12:13], -v[12:13], v[20:21], v[18:19]
	s_nop 1
	v_div_fmas_f64 v[12:13], v[12:13], v[16:17], v[20:21]
	v_div_fixup_f64 v[12:13], v[12:13], v[4:5], 1.0
	v_div_scale_f64 v[4:5], s[2:3], v[10:11], v[10:11], 1.0
	v_rcp_f64_e32 v[16:17], v[4:5]
	v_fma_f64 v[18:19], -v[4:5], v[16:17], 1.0
	v_fma_f64 v[16:17], v[16:17], v[18:19], v[16:17]
	v_fma_f64 v[18:19], -v[4:5], v[16:17], 1.0
	v_fma_f64 v[16:17], v[16:17], v[18:19], v[16:17]
	v_div_scale_f64 v[18:19], vcc, 1.0, v[10:11], 1.0
	v_mul_f64 v[20:21], v[18:19], v[16:17]
	v_fma_f64 v[4:5], -v[4:5], v[20:21], v[18:19]
	s_nop 1
	v_div_fmas_f64 v[4:5], v[4:5], v[16:17], v[20:21]
	v_div_fixup_f64 v[4:5], v[4:5], v[10:11], 1.0
	v_fma_f64 v[10:11], v[24:25], -2.0, v[10:11]
	v_mul_f64 v[36:37], v[14:15], v[4:5]
	s_waitcnt vmcnt(0)
	v_mul_f64 v[10:11], v[34:35], v[10:11]
	v_mul_f64 v[14:15], s[12:13], v[8:9]
	v_mul_f64 v[38:39], v[4:5], -v[32:33]
	v_div_scale_f64 v[16:17], s[2:3], v[2:3], v[2:3], v[10:11]
	v_rcp_f64_e32 v[18:19], v[16:17]
	v_fma_f64 v[20:21], -v[16:17], v[18:19], 1.0
	v_fma_f64 v[18:19], v[18:19], v[20:21], v[18:19]
	v_fma_f64 v[20:21], -v[16:17], v[18:19], 1.0
	v_fma_f64 v[18:19], v[18:19], v[20:21], v[18:19]
	v_div_scale_f64 v[20:21], vcc, v[10:11], v[2:3], v[10:11]
	v_mul_f64 v[22:23], v[20:21], v[18:19]
	v_fma_f64 v[16:17], -v[16:17], v[22:23], v[20:21]
	s_nop 1
	v_div_fmas_f64 v[16:17], v[16:17], v[18:19], v[22:23]
	v_div_fixup_f64 v[10:11], v[16:17], v[2:3], v[10:11]
	v_mul_f64 v[2:3], v[2:3], v[2:3]
	v_fma_f64 v[10:11], s[12:13], v[8:9], v[10:11]
	v_mul_f64 v[16:17], v[12:13], -v[10:11]
	v_fma_f64 v[10:11], v[24:25], v[24:25], v[28:29]
	v_mul_f64 v[8:9], v[8:9], v[10:11]
	v_fma_f64 v[10:11], -v[34:35], v[14:15], v[8:9]
	buffer_load_dword v14, off, s[96:99], 0 offset:144 ; 4-byte Folded Reload
	buffer_load_dword v15, off, s[96:99], 0 offset:148 ; 4-byte Folded Reload
	v_fma_f64 v[18:19], v[10:11], v[12:13], 1.0
	v_add_f64 v[10:11], v[24:25], -1.0
	s_waitcnt vmcnt(0)
	v_fma_f64 v[8:9], -v[14:15], v[10:11], v[8:9]
	buffer_load_dword v14, off, s[96:99], 0 offset:80 ; 4-byte Folded Reload
	buffer_load_dword v15, off, s[96:99], 0 offset:84 ; 4-byte Folded Reload
	s_waitcnt vmcnt(0)
	v_add_f64 v[8:9], v[8:9], -v[14:15]
	v_add_f64 v[14:15], v[30:31], v[30:31]
	v_mul_f64 v[14:15], v[30:31], v[14:15]
	v_mul_f64 v[10:11], v[10:11], v[14:15]
	buffer_load_dword v14, off, s[96:99], 0 offset:72 ; 4-byte Folded Reload
	buffer_load_dword v15, off, s[96:99], 0 offset:76 ; 4-byte Folded Reload
	;; [unrolled: 1-line block ×4, first 2 shown]
	s_nop 0
	buffer_store_dword v36, off, s[96:99], 0 offset:312 ; 4-byte Folded Spill
	s_nop 0
	buffer_store_dword v37, off, s[96:99], 0 offset:316 ; 4-byte Folded Spill
	v_mul_f64 v[10:11], v[10:11], v[4:5]
	v_fma_f64 v[22:23], v[8:9], v[12:13], -v[10:11]
	v_mov_b32_e32 v8, 0x3e45798e
	v_cndmask_b32_e64 v1, v1, v8, s[0:1]
	v_mov_b32_e32 v8, 0xe2308c3a
	v_cndmask_b32_e64 v0, v0, v8, s[0:1]
	v_mul_f64 v[0:1], -v[0:1], v[6:7]
	s_waitcnt vmcnt(4)
	v_div_scale_f64 v[6:7], s[0:1], v[2:3], v[2:3], v[14:15]
	s_mov_b32 s0, 0xd2f1a9fc
	s_mov_b32 s1, 0x3f50624d
	v_rcp_f64_e32 v[8:9], v[6:7]
	v_fma_f64 v[10:11], -v[6:7], v[8:9], 1.0
	v_fma_f64 v[8:9], v[8:9], v[10:11], v[8:9]
	v_fma_f64 v[10:11], -v[6:7], v[8:9], 1.0
	v_fma_f64 v[8:9], v[8:9], v[10:11], v[8:9]
	v_div_scale_f64 v[10:11], vcc, v[14:15], v[2:3], v[14:15]
	v_mul_f64 v[12:13], v[10:11], v[8:9]
	v_fma_f64 v[6:7], -v[6:7], v[12:13], v[10:11]
	s_nop 1
	v_div_fmas_f64 v[6:7], v[6:7], v[8:9], v[12:13]
	v_div_fixup_f64 v[2:3], v[6:7], v[2:3], v[14:15]
	v_add_f64 v[2:3], v[2:3], -v[28:29]
	v_mul_f64 v[0:1], v[2:3], v[0:1]
	v_mul_f64 v[4:5], v[0:1], v[4:5]
	s_waitcnt vmcnt(2)
	v_mul_f64 v[0:1], v[20:21], v[36:37]
	v_add_f64 v[0:1], |v[24:25]|, |v[0:1]|
	v_add_f64 v[0:1], v[0:1], s[0:1]
	buffer_store_dword v0, off, s[96:99], 0 offset:368 ; 4-byte Folded Spill
	s_nop 0
	buffer_store_dword v1, off, s[96:99], 0 offset:372 ; 4-byte Folded Spill
	buffer_store_dword v38, off, s[96:99], 0 offset:328 ; 4-byte Folded Spill
	s_nop 0
	buffer_store_dword v39, off, s[96:99], 0 offset:332 ; 4-byte Folded Spill
	v_mul_f64 v[0:1], v[20:21], v[38:39]
	v_add_f64 v[0:1], |v[26:27]|, |v[0:1]|
	v_add_f64 v[0:1], v[0:1], s[0:1]
	buffer_store_dword v0, off, s[96:99], 0 offset:376 ; 4-byte Folded Spill
	s_nop 0
	buffer_store_dword v1, off, s[96:99], 0 offset:380 ; 4-byte Folded Spill
	buffer_store_dword v16, off, s[96:99], 0 offset:336 ; 4-byte Folded Spill
	s_nop 0
	buffer_store_dword v17, off, s[96:99], 0 offset:340 ; 4-byte Folded Spill
	buffer_load_dword v2, off, s[96:99], 0 offset:480 ; 4-byte Folded Reload
	buffer_load_dword v3, off, s[96:99], 0 offset:484 ; 4-byte Folded Reload
	v_mul_f64 v[0:1], v[20:21], v[16:17]
	s_waitcnt vmcnt(0)
	v_add_f64 v[0:1], |v[2:3]|, |v[0:1]|
	v_add_f64 v[0:1], v[0:1], s[0:1]
	buffer_store_dword v0, off, s[96:99], 0 offset:384 ; 4-byte Folded Spill
	s_nop 0
	buffer_store_dword v1, off, s[96:99], 0 offset:388 ; 4-byte Folded Spill
	buffer_store_dword v18, off, s[96:99], 0 offset:344 ; 4-byte Folded Spill
	s_nop 0
	buffer_store_dword v19, off, s[96:99], 0 offset:348 ; 4-byte Folded Spill
	buffer_load_dword v2, off, s[96:99], 0 offset:488 ; 4-byte Folded Reload
	buffer_load_dword v3, off, s[96:99], 0 offset:492 ; 4-byte Folded Reload
	v_mul_f64 v[0:1], v[20:21], -v[18:19]
	s_waitcnt vmcnt(0)
	v_add_f64 v[0:1], |v[2:3]|, |v[0:1]|
	v_add_f64 v[0:1], v[0:1], s[0:1]
	buffer_store_dword v0, off, s[96:99], 0 offset:392 ; 4-byte Folded Spill
	s_nop 0
	buffer_store_dword v1, off, s[96:99], 0 offset:396 ; 4-byte Folded Spill
	buffer_store_dword v22, off, s[96:99], 0 offset:352 ; 4-byte Folded Spill
	s_nop 0
	buffer_store_dword v23, off, s[96:99], 0 offset:356 ; 4-byte Folded Spill
	v_mul_f64 v[0:1], v[20:21], -v[22:23]
	v_add_f64 v[0:1], |v[30:31]|, |v[0:1]|
	v_add_f64 v[0:1], v[0:1], s[0:1]
	buffer_store_dword v0, off, s[96:99], 0 offset:400 ; 4-byte Folded Spill
	s_nop 0
	buffer_store_dword v1, off, s[96:99], 0 offset:404 ; 4-byte Folded Spill
	buffer_store_dword v4, off, s[96:99], 0 offset:360 ; 4-byte Folded Spill
	s_nop 0
	buffer_store_dword v5, off, s[96:99], 0 offset:364 ; 4-byte Folded Spill
	v_mul_f64 v[0:1], v[20:21], v[4:5]
	v_add_f64 v[0:1], |v[32:33]|, |v[0:1]|
	v_add_f64 v[0:1], v[0:1], s[0:1]
	buffer_store_dword v0, off, s[96:99], 0 offset:408 ; 4-byte Folded Spill
	s_nop 0
	buffer_store_dword v1, off, s[96:99], 0 offset:412 ; 4-byte Folded Spill
	s_branch .LBB1_93
.LBB1_90:                               ;   in Loop: Header=BB1_93 Depth=3
	s_or_b64 exec, exec, s[8:9]
.LBB1_91:                               ;   in Loop: Header=BB1_93 Depth=3
	s_or_b64 exec, exec, s[2:3]
	s_xor_b64 s[2:3], exec, -1
.LBB1_92:                               ;   in Loop: Header=BB1_93 Depth=3
	s_or_b64 exec, exec, s[0:1]
	s_and_b64 s[0:1], exec, s[2:3]
	s_or_b64 s[4:5], s[0:1], s[4:5]
	s_andn2_b64 exec, exec, s[4:5]
	s_cbranch_execz .LBB1_141
.LBB1_93:                               ;   Parent Loop BB1_79 Depth=1
                                        ;     Parent Loop BB1_81 Depth=2
                                        ; =>    This Inner Loop Header: Depth=3
	buffer_load_dword v0, off, s[96:99], 0 offset:328 ; 4-byte Folded Reload
	buffer_load_dword v1, off, s[96:99], 0 offset:332 ; 4-byte Folded Reload
	v_mov_b32_e32 v18, v20
	v_mov_b32_e32 v19, v21
                                        ; implicit-def: $vgpr40
                                        ; implicit-def: $vgpr3_vgpr4
                                        ; implicit-def: $vgpr5_vgpr6
	s_waitcnt vmcnt(0)
	v_mul_f64 v[59:60], v[0:1], v[18:19]
	buffer_load_dword v0, off, s[96:99], 0 offset:24 ; 4-byte Folded Reload
	buffer_load_dword v1, off, s[96:99], 0 offset:28 ; 4-byte Folded Reload
	s_waitcnt vmcnt(0)
	v_fma_f64 v[1:2], v[59:60], s[90:91], v[0:1]
	v_trig_preop_f64 v[11:12], |v[1:2]|, 0
	v_trig_preop_f64 v[9:10], |v[1:2]|, 1
	;; [unrolled: 1-line block ×3, first 2 shown]
	v_cmp_nlt_f64_e64 s[2:3], |v[1:2]|, s[54:55]
	v_ldexp_f64 v[13:14], |v[1:2]|, s33
	v_and_b32_e32 v0, 0x7fffffff, v2
	s_and_saveexec_b64 s[0:1], s[2:3]
	s_xor_b64 s[8:9], exec, s[0:1]
	s_cbranch_execz .LBB1_95
; %bb.94:                               ;   in Loop: Header=BB1_93 Depth=3
	v_cmp_ge_f64_e64 vcc, |v[1:2]|, s[56:57]
	v_mov_b32_e32 v17, 0x40100000
	s_mov_b32 s58, s60
	s_mov_b32 s73, s53
	v_cndmask_b32_e32 v16, v0, v14, vcc
	v_cndmask_b32_e32 v15, v1, v13, vcc
	v_mul_f64 v[22:23], v[11:12], v[15:16]
	v_mul_f64 v[3:4], v[9:10], v[15:16]
	;; [unrolled: 1-line block ×3, first 2 shown]
	v_fma_f64 v[24:25], v[11:12], v[15:16], -v[22:23]
	v_add_f64 v[27:28], v[3:4], v[24:25]
	v_add_f64 v[31:32], v[27:28], -v[3:4]
	v_add_f64 v[29:30], v[22:23], v[27:28]
	v_add_f64 v[24:25], v[24:25], -v[31:32]
	v_add_f64 v[31:32], v[27:28], -v[31:32]
	v_ldexp_f64 v[5:6], v[29:30], -2
	v_add_f64 v[31:32], v[3:4], -v[31:32]
	v_fract_f64_e32 v[20:21], v[5:6]
	v_cmp_neq_f64_e64 vcc, |v[5:6]|, s[74:75]
	v_add_f64 v[24:25], v[24:25], v[31:32]
	v_fma_f64 v[31:32], v[9:10], v[15:16], -v[3:4]
	v_add_f64 v[3:4], v[29:30], -v[22:23]
	v_ldexp_f64 v[20:21], v[20:21], 2
	v_fma_f64 v[15:16], v[7:8], v[15:16], -v[33:34]
	v_add_f64 v[35:36], v[33:34], v[31:32]
	v_add_f64 v[22:23], v[27:28], -v[3:4]
	v_cndmask_b32_e32 v6, 0, v21, vcc
	v_cndmask_b32_e32 v5, 0, v20, vcc
	v_add_f64 v[37:38], v[35:36], v[24:25]
	v_add_f64 v[3:4], v[22:23], v[37:38]
	v_add_f64 v[27:28], v[37:38], -v[35:36]
	v_add_f64 v[20:21], v[3:4], v[5:6]
	v_add_f64 v[24:25], v[24:25], -v[27:28]
	v_add_f64 v[27:28], v[37:38], -v[27:28]
	;; [unrolled: 1-line block ×3, first 2 shown]
	v_cmp_gt_f64_e32 vcc, 0, v[20:21]
	buffer_load_dword v20, off, s[96:99], 0 ; 4-byte Folded Reload
	buffer_load_dword v21, off, s[96:99], 0 offset:4 ; 4-byte Folded Reload
	v_add_f64 v[27:28], v[35:36], -v[27:28]
	v_add_f64 v[22:23], v[37:38], -v[22:23]
	v_add_f64 v[24:25], v[24:25], v[27:28]
	v_add_f64 v[27:28], v[35:36], -v[33:34]
	v_add_f64 v[29:30], v[31:32], -v[27:28]
	;; [unrolled: 1-line block ×4, first 2 shown]
	v_add_f64 v[27:28], v[29:30], v[27:28]
	v_add_f64 v[24:25], v[27:28], v[24:25]
	;; [unrolled: 1-line block ×4, first 2 shown]
	v_cndmask_b32_e32 v23, 0, v17, vcc
	s_waitcnt vmcnt(1)
	v_mov_b32_e32 v22, v20
	v_add_f64 v[5:6], v[5:6], v[22:23]
	s_waitcnt vmcnt(0)
	v_add_f64 v[20:21], v[3:4], v[5:6]
	v_cvt_i32_f64_e32 v17, v[20:21]
	v_cvt_f64_i32_e32 v[20:21], v17
	v_add_f64 v[5:6], v[5:6], -v[20:21]
	v_add_f64 v[20:21], v[3:4], v[5:6]
	v_add_f64 v[5:6], v[20:21], -v[5:6]
	v_cmp_le_f64_e32 vcc, 0.5, v[20:21]
	v_add_f64 v[3:4], v[3:4], -v[5:6]
	v_mov_b32_e32 v5, 0x3ff00000
	v_cndmask_b32_e32 v23, 0, v5, vcc
	v_mov_b32_e32 v5, v22
	buffer_store_dword v5, off, s[96:99], 0 ; 4-byte Folded Spill
	s_nop 0
	buffer_store_dword v6, off, s[96:99], 0 offset:4 ; 4-byte Folded Spill
	v_add_f64 v[5:6], v[20:21], -v[22:23]
	v_addc_co_u32_e64 v40, s[0:1], 0, v17, vcc
	v_add_f64 v[3:4], v[15:16], v[3:4]
	v_add_f64 v[15:16], v[5:6], v[3:4]
	v_add_f64 v[5:6], v[15:16], -v[5:6]
	v_add_f64 v[3:4], v[3:4], -v[5:6]
	v_mul_f64 v[5:6], v[15:16], s[58:59]
	v_fma_f64 v[20:21], v[15:16], s[58:59], -v[5:6]
	v_fma_f64 v[15:16], v[15:16], s[72:73], v[20:21]
	v_fma_f64 v[15:16], v[3:4], s[58:59], v[15:16]
	v_add_f64 v[3:4], v[5:6], v[15:16]
	v_add_f64 v[5:6], v[3:4], -v[5:6]
	v_add_f64 v[5:6], v[15:16], -v[5:6]
	s_andn2_saveexec_b64 s[0:1], s[8:9]
	s_cbranch_execz .LBB1_97
	s_branch .LBB1_96
.LBB1_95:                               ;   in Loop: Header=BB1_93 Depth=3
	s_andn2_saveexec_b64 s[0:1], s[8:9]
	s_cbranch_execz .LBB1_97
.LBB1_96:                               ;   in Loop: Header=BB1_93 Depth=3
	v_mul_f64 v[3:4], |v[1:2]|, s[62:63]
	s_mov_b32 s52, s64
	v_rndne_f64_e32 v[15:16], v[3:4]
	v_fma_f64 v[3:4], v[15:16], s[60:61], |v[1:2]|
	v_mul_f64 v[5:6], v[15:16], s[64:65]
	v_cvt_i32_f64_e32 v40, v[15:16]
	v_fma_f64 v[24:25], v[15:16], s[64:65], v[3:4]
	v_add_f64 v[20:21], v[3:4], v[5:6]
	v_add_f64 v[22:23], v[3:4], -v[20:21]
	v_add_f64 v[20:21], v[20:21], -v[24:25]
	v_add_f64 v[3:4], v[22:23], v[5:6]
	v_fma_f64 v[5:6], v[15:16], s[52:53], v[5:6]
	v_add_f64 v[3:4], v[20:21], v[3:4]
	v_add_f64 v[3:4], v[3:4], -v[5:6]
	v_fma_f64 v[5:6], v[15:16], s[18:19], v[3:4]
	v_add_f64 v[3:4], v[24:25], v[5:6]
	v_add_f64 v[20:21], v[3:4], -v[24:25]
	v_add_f64 v[5:6], v[5:6], -v[20:21]
.LBB1_97:                               ;   in Loop: Header=BB1_93 Depth=3
	s_or_b64 exec, exec, s[0:1]
                                        ; implicit-def: $vgpr17
                                        ; implicit-def: $vgpr15_vgpr16
                                        ; implicit-def: $vgpr20_vgpr21
	s_and_saveexec_b64 s[0:1], s[2:3]
	s_xor_b64 s[2:3], exec, s[0:1]
	s_cbranch_execz .LBB1_99
; %bb.98:                               ;   in Loop: Header=BB1_93 Depth=3
	v_cmp_ge_f64_e64 vcc, |v[1:2]|, s[56:57]
	s_mov_b32 s58, s60
	s_mov_b32 s73, s53
	v_cndmask_b32_e32 v16, v0, v14, vcc
	v_cndmask_b32_e32 v15, v1, v13, vcc
	v_mul_f64 v[22:23], v[11:12], v[15:16]
	v_mul_f64 v[20:21], v[9:10], v[15:16]
	v_mov_b32_e32 v0, 0x40100000
	v_fma_f64 v[24:25], v[11:12], v[15:16], -v[22:23]
	v_add_f64 v[27:28], v[20:21], v[24:25]
	v_add_f64 v[31:32], v[27:28], -v[20:21]
	v_add_f64 v[29:30], v[22:23], v[27:28]
	v_add_f64 v[24:25], v[24:25], -v[31:32]
	v_add_f64 v[31:32], v[27:28], -v[31:32]
	v_ldexp_f64 v[11:12], v[29:30], -2
	v_add_f64 v[31:32], v[20:21], -v[31:32]
	v_fma_f64 v[20:21], v[9:10], v[15:16], -v[20:21]
	v_add_f64 v[9:10], v[29:30], -v[22:23]
	v_fract_f64_e32 v[13:14], v[11:12]
	v_cmp_neq_f64_e64 vcc, |v[11:12]|, s[74:75]
	v_add_f64 v[24:25], v[24:25], v[31:32]
	v_mul_f64 v[31:32], v[7:8], v[15:16]
	v_add_f64 v[22:23], v[27:28], -v[9:10]
	v_ldexp_f64 v[13:14], v[13:14], 2
	v_add_f64 v[33:34], v[31:32], v[20:21]
	v_fma_f64 v[7:8], v[7:8], v[15:16], -v[31:32]
	v_cndmask_b32_e32 v12, 0, v14, vcc
	v_cndmask_b32_e32 v11, 0, v13, vcc
	v_add_f64 v[35:36], v[33:34], v[24:25]
	v_add_f64 v[9:10], v[22:23], v[35:36]
	v_add_f64 v[27:28], v[35:36], -v[33:34]
	v_add_f64 v[13:14], v[9:10], v[11:12]
	v_add_f64 v[24:25], v[24:25], -v[27:28]
	v_add_f64 v[27:28], v[35:36], -v[27:28]
	;; [unrolled: 1-line block ×3, first 2 shown]
	v_cmp_gt_f64_e32 vcc, 0, v[13:14]
	buffer_load_dword v13, off, s[96:99], 0 ; 4-byte Folded Reload
	buffer_load_dword v14, off, s[96:99], 0 offset:4 ; 4-byte Folded Reload
	v_add_f64 v[27:28], v[33:34], -v[27:28]
	v_add_f64 v[22:23], v[35:36], -v[22:23]
	v_cndmask_b32_e32 v16, 0, v0, vcc
	v_add_f64 v[24:25], v[24:25], v[27:28]
	v_add_f64 v[27:28], v[33:34], -v[31:32]
	v_add_f64 v[20:21], v[20:21], -v[27:28]
	;; [unrolled: 1-line block ×4, first 2 shown]
	v_add_f64 v[20:21], v[20:21], v[27:28]
	v_add_f64 v[20:21], v[20:21], v[24:25]
	;; [unrolled: 1-line block ×4, first 2 shown]
	s_waitcnt vmcnt(1)
	v_mov_b32_e32 v15, v13
	v_add_f64 v[11:12], v[11:12], v[15:16]
	s_waitcnt vmcnt(0)
	v_add_f64 v[13:14], v[9:10], v[11:12]
	v_cvt_i32_f64_e32 v0, v[13:14]
	v_cvt_f64_i32_e32 v[13:14], v0
	v_add_f64 v[11:12], v[11:12], -v[13:14]
	v_add_f64 v[13:14], v[9:10], v[11:12]
	v_add_f64 v[11:12], v[13:14], -v[11:12]
	v_cmp_le_f64_e32 vcc, 0.5, v[13:14]
	v_add_f64 v[9:10], v[9:10], -v[11:12]
	v_addc_co_u32_e64 v17, s[0:1], 0, v0, vcc
	v_mov_b32_e32 v0, 0x3ff00000
	v_cndmask_b32_e32 v16, 0, v0, vcc
	v_mov_b32_e32 v0, v15
	buffer_store_dword v0, off, s[96:99], 0 ; 4-byte Folded Spill
	s_nop 0
	buffer_store_dword v1, off, s[96:99], 0 offset:4 ; 4-byte Folded Spill
	v_add_f64 v[7:8], v[7:8], v[9:10]
	v_add_f64 v[9:10], v[13:14], -v[15:16]
	v_add_f64 v[11:12], v[9:10], v[7:8]
	v_add_f64 v[9:10], v[11:12], -v[9:10]
	v_add_f64 v[7:8], v[7:8], -v[9:10]
	v_mul_f64 v[9:10], v[11:12], s[58:59]
	v_fma_f64 v[13:14], v[11:12], s[58:59], -v[9:10]
	v_fma_f64 v[11:12], v[11:12], s[72:73], v[13:14]
	v_fma_f64 v[7:8], v[7:8], s[58:59], v[11:12]
	v_add_f64 v[15:16], v[9:10], v[7:8]
	v_add_f64 v[9:10], v[15:16], -v[9:10]
	v_add_f64 v[20:21], v[7:8], -v[9:10]
	s_andn2_saveexec_b64 s[0:1], s[2:3]
	s_cbranch_execnz .LBB1_100
	s_branch .LBB1_101
.LBB1_99:                               ;   in Loop: Header=BB1_93 Depth=3
	s_andn2_saveexec_b64 s[0:1], s[2:3]
	s_cbranch_execz .LBB1_101
.LBB1_100:                              ;   in Loop: Header=BB1_93 Depth=3
	v_mul_f64 v[7:8], |v[1:2]|, s[62:63]
	s_mov_b32 s52, s64
	v_rndne_f64_e32 v[7:8], v[7:8]
	v_fma_f64 v[9:10], v[7:8], s[60:61], |v[1:2]|
	v_mul_f64 v[11:12], v[7:8], s[64:65]
	v_cvt_i32_f64_e32 v17, v[7:8]
	v_add_f64 v[13:14], v[9:10], v[11:12]
	v_add_f64 v[15:16], v[9:10], -v[13:14]
	v_fma_f64 v[9:10], v[7:8], s[64:65], v[9:10]
	v_add_f64 v[15:16], v[15:16], v[11:12]
	v_add_f64 v[13:14], v[13:14], -v[9:10]
	v_fma_f64 v[11:12], v[7:8], s[52:53], v[11:12]
	;; [unrolled: 3-line block ×3, first 2 shown]
	v_add_f64 v[15:16], v[9:10], v[11:12]
	v_add_f64 v[9:10], v[15:16], -v[9:10]
	v_add_f64 v[20:21], v[11:12], -v[9:10]
.LBB1_101:                              ;   in Loop: Header=BB1_93 Depth=3
	s_or_b64 exec, exec, s[0:1]
	buffer_load_dword v9, off, s[96:99], 0 offset:464 ; 4-byte Folded Reload
	buffer_load_dword v10, off, s[96:99], 0 offset:468 ; 4-byte Folded Reload
	;; [unrolled: 1-line block ×4, first 2 shown]
	v_mul_f64 v[7:8], v[15:16], v[15:16]
	v_mul_f64 v[24:25], v[20:21], 0.5
	s_mov_b32 s44, s30
	v_and_b32_e32 v0, 1, v17
	v_cmp_eq_u32_e32 vcc, 0, v0
	v_cmp_class_f64_e64 s[0:1], v[1:2], s6
	v_lshlrev_b32_e32 v1, 30, v17
	v_and_b32_e32 v1, 0x80000000, v1
	v_mul_f64 v[13:14], v[7:8], 0.5
	v_mul_f64 v[27:28], v[15:16], -v[7:8]
                                        ; implicit-def: $vgpr52
                                        ; implicit-def: $vgpr32_vgpr33
                                        ; implicit-def: $vgpr36_vgpr37
	v_add_f64 v[22:23], -v[13:14], 1.0
	v_add_f64 v[29:30], -v[22:23], 1.0
	v_add_f64 v[13:14], v[29:30], -v[13:14]
	v_fma_f64 v[13:14], v[15:16], -v[20:21], v[13:14]
	s_waitcnt vmcnt(2)
	v_fma_f64 v[9:10], v[7:8], s[36:37], v[9:10]
	s_waitcnt vmcnt(0)
	v_fma_f64 v[11:12], v[7:8], s[22:23], v[11:12]
	v_fma_f64 v[9:10], v[7:8], v[9:10], s[38:39]
	;; [unrolled: 1-line block ×8, first 2 shown]
	v_mul_f64 v[24:25], v[7:8], v[7:8]
	v_fma_f64 v[11:12], v[7:8], v[11:12], s[30:31]
	v_fma_f64 v[7:8], v[7:8], v[9:10], -v[20:21]
	v_fma_f64 v[9:10], v[24:25], v[11:12], v[13:14]
	buffer_load_dword v11, off, s[96:99], 0 offset:312 ; 4-byte Folded Reload
	buffer_load_dword v12, off, s[96:99], 0 offset:316 ; 4-byte Folded Reload
	v_fma_f64 v[7:8], v[27:28], s[44:45], v[7:8]
	v_add_f64 v[9:10], v[22:23], v[9:10]
	v_add_f64 v[7:8], v[15:16], -v[7:8]
	v_cndmask_b32_e32 v0, v7, v9, vcc
	v_xor_b32_e32 v7, 0x80000000, v8
	v_cndmask_b32_e32 v8, v7, v10, vcc
	v_cndmask_b32_e64 v7, 0, v0, s[0:1]
	v_xor_b32_e32 v0, v8, v1
	v_cndmask_b32_e64 v8, v54, v0, s[0:1]
	v_mul_f64 v[0:1], v[7:8], v[7:8]
	s_waitcnt vmcnt(0)
	v_mul_f64 v[13:14], v[11:12], v[18:19]
	buffer_load_dword v11, off, s[96:99], 0 offset:32 ; 4-byte Folded Reload
	buffer_load_dword v12, off, s[96:99], 0 offset:36 ; 4-byte Folded Reload
	s_nop 0
	buffer_store_dword v13, off, s[96:99], 0 offset:8 ; 4-byte Folded Spill
	s_nop 0
	buffer_store_dword v14, off, s[96:99], 0 offset:12 ; 4-byte Folded Spill
	buffer_load_dword v9, off, s[96:99], 0 offset:56 ; 4-byte Folded Reload
	buffer_load_dword v10, off, s[96:99], 0 offset:60 ; 4-byte Folded Reload
	s_waitcnt vmcnt(4)
	v_fma_f64 v[12:13], v[13:14], s[90:91], v[11:12]
	v_mul_f64 v[57:58], v[12:13], v[12:13]
	s_waitcnt vmcnt(0)
	v_fma_f64 v[30:31], v[9:10], v[0:1], v[57:58]
	v_div_scale_f64 v[0:1], s[2:3], v[30:31], v[30:31], 1.0
	v_rcp_f64_e32 v[9:10], v[0:1]
	v_fma_f64 v[14:15], -v[0:1], v[9:10], 1.0
	v_fma_f64 v[9:10], v[9:10], v[14:15], v[9:10]
	v_div_scale_f64 v[14:15], vcc, 1.0, v[30:31], 1.0
	v_fma_f64 v[20:21], -v[0:1], v[9:10], 1.0
	v_fma_f64 v[9:10], v[9:10], v[20:21], v[9:10]
	v_mul_f64 v[20:21], v[14:15], v[9:10]
	v_fma_f64 v[0:1], -v[0:1], v[20:21], v[14:15]
	v_div_fmas_f64 v[0:1], v[0:1], v[9:10], v[20:21]
	buffer_load_dword v9, off, s[96:99], 0 offset:360 ; 4-byte Folded Reload
	buffer_load_dword v10, off, s[96:99], 0 offset:364 ; 4-byte Folded Reload
	s_waitcnt vmcnt(0)
	v_mul_f64 v[14:15], v[9:10], v[18:19]
	buffer_load_dword v9, off, s[96:99], 0 offset:48 ; 4-byte Folded Reload
	buffer_load_dword v10, off, s[96:99], 0 offset:52 ; 4-byte Folded Reload
	s_nop 0
	buffer_store_dword v14, off, s[96:99], 0 offset:16 ; 4-byte Folded Spill
	s_nop 0
	buffer_store_dword v15, off, s[96:99], 0 offset:20 ; 4-byte Folded Spill
	s_waitcnt vmcnt(2)
	v_fma_f64 v[9:10], v[14:15], s[90:91], v[9:10]
	v_div_fixup_f64 v[14:15], v[0:1], v[30:31], 1.0
	v_mul_f64 v[0:1], v[14:15], -v[9:10]
	buffer_load_dword v9, off, s[96:99], 0 offset:24 ; 4-byte Folded Reload
	buffer_load_dword v10, off, s[96:99], 0 offset:28 ; 4-byte Folded Reload
	v_mul_f64 v[34:35], v[18:19], v[0:1]
	s_waitcnt vmcnt(0)
	v_fma_f64 v[9:10], v[59:60], s[76:77], v[9:10]
	v_fma_f64 v[0:1], v[34:35], s[78:79], v[9:10]
	v_trig_preop_f64 v[22:23], |v[0:1]|, 0
	v_trig_preop_f64 v[20:21], |v[0:1]|, 1
	;; [unrolled: 1-line block ×3, first 2 shown]
	v_cmp_nlt_f64_e64 s[8:9], |v[0:1]|, s[54:55]
	v_ldexp_f64 v[24:25], |v[0:1]|, s33
	v_and_b32_e32 v11, 0x7fffffff, v1
	s_and_saveexec_b64 s[2:3], s[8:9]
	s_xor_b64 s[68:69], exec, s[2:3]
	s_cbranch_execz .LBB1_103
; %bb.102:                              ;   in Loop: Header=BB1_93 Depth=3
	v_cmp_ge_f64_e64 vcc, |v[0:1]|, s[56:57]
	buffer_load_dword v16, off, s[96:99], 0 ; 4-byte Folded Reload
	buffer_load_dword v17, off, s[96:99], 0 offset:4 ; 4-byte Folded Reload
	s_mov_b32 s58, s60
	s_mov_b32 s73, s53
	v_cndmask_b32_e32 v37, v11, v25, vcc
	v_cndmask_b32_e32 v36, v0, v24, vcc
	v_mul_f64 v[41:42], v[22:23], v[36:37]
	v_mul_f64 v[27:28], v[20:21], v[36:37]
	v_mul_f64 v[51:52], v[9:10], v[36:37]
	v_fma_f64 v[43:44], v[22:23], v[36:37], -v[41:42]
	v_add_f64 v[45:46], v[27:28], v[43:44]
	v_add_f64 v[49:50], v[45:46], -v[27:28]
	v_add_f64 v[47:48], v[41:42], v[45:46]
	v_add_f64 v[43:44], v[43:44], -v[49:50]
	v_add_f64 v[49:50], v[45:46], -v[49:50]
	v_ldexp_f64 v[32:33], v[47:48], -2
	v_add_f64 v[49:50], v[27:28], -v[49:50]
	v_fract_f64_e32 v[38:39], v[32:33]
	v_cmp_neq_f64_e64 vcc, |v[32:33]|, s[74:75]
	v_add_f64 v[43:44], v[43:44], v[49:50]
	v_fma_f64 v[49:50], v[20:21], v[36:37], -v[27:28]
	v_add_f64 v[27:28], v[47:48], -v[41:42]
	v_ldexp_f64 v[38:39], v[38:39], 2
	v_fma_f64 v[36:37], v[9:10], v[36:37], -v[51:52]
	v_add_f64 v[53:54], v[51:52], v[49:50]
	v_add_f64 v[41:42], v[45:46], -v[27:28]
	v_cndmask_b32_e32 v33, 0, v39, vcc
	v_cndmask_b32_e32 v32, 0, v38, vcc
	v_add_f64 v[55:56], v[53:54], v[43:44]
	s_waitcnt vmcnt(1)
	v_mov_b32_e32 v26, v16
	v_mov_b32_e32 v16, 0x40100000
	v_add_f64 v[28:29], v[41:42], v[55:56]
	v_add_f64 v[45:46], v[55:56], -v[53:54]
	v_add_f64 v[38:39], v[28:29], v[32:33]
	v_add_f64 v[43:44], v[43:44], -v[45:46]
	v_add_f64 v[45:46], v[55:56], -v[45:46]
	;; [unrolled: 1-line block ×3, first 2 shown]
	v_cmp_gt_f64_e32 vcc, 0, v[38:39]
	v_add_f64 v[45:46], v[53:54], -v[45:46]
	v_add_f64 v[41:42], v[55:56], -v[41:42]
	v_cndmask_b32_e32 v27, 0, v16, vcc
	v_add_f64 v[32:33], v[32:33], v[26:27]
	v_add_f64 v[43:44], v[43:44], v[45:46]
	v_add_f64 v[45:46], v[53:54], -v[51:52]
	v_add_f64 v[38:39], v[28:29], v[32:33]
	v_add_f64 v[47:48], v[49:50], -v[45:46]
	v_add_f64 v[45:46], v[53:54], -v[45:46]
	v_cvt_i32_f64_e32 v16, v[38:39]
	v_add_f64 v[45:46], v[51:52], -v[45:46]
	v_cvt_f64_i32_e32 v[38:39], v16
	v_add_f64 v[32:33], v[32:33], -v[38:39]
	v_add_f64 v[45:46], v[47:48], v[45:46]
	v_add_f64 v[38:39], v[28:29], v[32:33]
	;; [unrolled: 1-line block ×3, first 2 shown]
	v_add_f64 v[32:33], v[38:39], -v[32:33]
	v_cmp_le_f64_e32 vcc, 0.5, v[38:39]
	v_add_f64 v[36:37], v[36:37], v[43:44]
	v_add_f64 v[27:28], v[28:29], -v[32:33]
	v_addc_co_u32_e64 v52, s[2:3], 0, v16, vcc
	v_add_f64 v[36:37], v[41:42], v[36:37]
	v_mov_b32_e32 v16, 0x3ff00000
	v_add_f64 v[28:29], v[36:37], v[27:28]
	v_cndmask_b32_e32 v27, 0, v16, vcc
	v_add_f64 v[32:33], v[38:39], -v[26:27]
	v_mov_b32_e32 v16, v26
	buffer_store_dword v16, off, s[96:99], 0 ; 4-byte Folded Spill
	s_waitcnt vmcnt(1)
	buffer_store_dword v17, off, s[96:99], 0 offset:4 ; 4-byte Folded Spill
	v_add_f64 v[36:37], v[32:33], v[28:29]
	v_add_f64 v[32:33], v[36:37], -v[32:33]
	v_mul_f64 v[38:39], v[36:37], s[58:59]
	v_add_f64 v[27:28], v[28:29], -v[32:33]
	v_fma_f64 v[32:33], v[36:37], s[58:59], -v[38:39]
	v_fma_f64 v[32:33], v[36:37], s[72:73], v[32:33]
	v_fma_f64 v[27:28], v[27:28], s[58:59], v[32:33]
	v_add_f64 v[32:33], v[38:39], v[27:28]
	v_add_f64 v[36:37], v[32:33], -v[38:39]
	v_add_f64 v[36:37], v[27:28], -v[36:37]
	s_andn2_saveexec_b64 s[2:3], s[68:69]
	s_cbranch_execz .LBB1_105
	s_branch .LBB1_104
.LBB1_103:                              ;   in Loop: Header=BB1_93 Depth=3
	s_andn2_saveexec_b64 s[2:3], s[68:69]
	s_cbranch_execz .LBB1_105
.LBB1_104:                              ;   in Loop: Header=BB1_93 Depth=3
	v_mul_f64 v[27:28], |v[0:1]|, s[62:63]
	s_mov_b32 s52, s64
	v_rndne_f64_e32 v[27:28], v[27:28]
	v_fma_f64 v[32:33], v[27:28], s[60:61], |v[0:1]|
	v_mul_f64 v[36:37], v[27:28], s[64:65]
	v_cvt_i32_f64_e32 v52, v[27:28]
	v_fma_f64 v[43:44], v[27:28], s[64:65], v[32:33]
	v_add_f64 v[38:39], v[32:33], v[36:37]
	v_add_f64 v[41:42], v[32:33], -v[38:39]
	v_add_f64 v[38:39], v[38:39], -v[43:44]
	v_add_f64 v[32:33], v[41:42], v[36:37]
	v_fma_f64 v[36:37], v[27:28], s[52:53], v[36:37]
	v_add_f64 v[32:33], v[38:39], v[32:33]
	v_add_f64 v[32:33], v[32:33], -v[36:37]
	v_fma_f64 v[36:37], v[27:28], s[18:19], v[32:33]
	v_add_f64 v[32:33], v[43:44], v[36:37]
	v_add_f64 v[38:39], v[32:33], -v[43:44]
	v_add_f64 v[36:37], v[36:37], -v[38:39]
.LBB1_105:                              ;   in Loop: Header=BB1_93 Depth=3
	s_or_b64 exec, exec, s[2:3]
                                        ; implicit-def: $vgpr29
                                        ; implicit-def: $vgpr27_vgpr28
                                        ; implicit-def: $vgpr38_vgpr39
	s_and_saveexec_b64 s[2:3], s[8:9]
	s_xor_b64 s[8:9], exec, s[2:3]
	s_cbranch_execz .LBB1_107
; %bb.106:                              ;   in Loop: Header=BB1_93 Depth=3
	v_cmp_ge_f64_e64 vcc, |v[0:1]|, s[56:57]
	buffer_load_dword v16, off, s[96:99], 0 ; 4-byte Folded Reload
	buffer_load_dword v17, off, s[96:99], 0 offset:4 ; 4-byte Folded Reload
	s_mov_b32 s58, s60
	s_mov_b32 s73, s53
	v_cndmask_b32_e32 v28, v11, v25, vcc
	v_cndmask_b32_e32 v27, v0, v24, vcc
	v_mul_f64 v[41:42], v[22:23], v[27:28]
	v_mul_f64 v[38:39], v[20:21], v[27:28]
	v_mov_b32_e32 v11, 0x40100000
	v_fma_f64 v[43:44], v[22:23], v[27:28], -v[41:42]
	v_add_f64 v[45:46], v[38:39], v[43:44]
	v_add_f64 v[49:50], v[45:46], -v[38:39]
	v_add_f64 v[47:48], v[41:42], v[45:46]
	v_add_f64 v[43:44], v[43:44], -v[49:50]
	v_add_f64 v[49:50], v[45:46], -v[49:50]
	v_ldexp_f64 v[22:23], v[47:48], -2
	v_add_f64 v[49:50], v[38:39], -v[49:50]
	v_fma_f64 v[38:39], v[20:21], v[27:28], -v[38:39]
	v_add_f64 v[20:21], v[47:48], -v[41:42]
	v_fract_f64_e32 v[24:25], v[22:23]
	v_cmp_neq_f64_e64 vcc, |v[22:23]|, s[74:75]
	v_add_f64 v[43:44], v[43:44], v[49:50]
	v_mul_f64 v[49:50], v[9:10], v[27:28]
	v_add_f64 v[41:42], v[45:46], -v[20:21]
	v_ldexp_f64 v[24:25], v[24:25], 2
	v_add_f64 v[53:54], v[49:50], v[38:39]
	v_fma_f64 v[9:10], v[9:10], v[27:28], -v[49:50]
	v_cndmask_b32_e32 v23, 0, v25, vcc
	v_cndmask_b32_e32 v22, 0, v24, vcc
	v_add_f64 v[55:56], v[53:54], v[43:44]
	v_add_f64 v[20:21], v[41:42], v[55:56]
	v_add_f64 v[45:46], v[55:56], -v[53:54]
	v_add_f64 v[24:25], v[20:21], v[22:23]
	v_add_f64 v[43:44], v[43:44], -v[45:46]
	v_add_f64 v[45:46], v[55:56], -v[45:46]
	;; [unrolled: 1-line block ×3, first 2 shown]
	v_cmp_gt_f64_e32 vcc, 0, v[24:25]
	v_add_f64 v[45:46], v[53:54], -v[45:46]
	v_add_f64 v[41:42], v[55:56], -v[41:42]
	s_waitcnt vmcnt(0)
	v_cndmask_b32_e32 v17, 0, v11, vcc
	v_add_f64 v[22:23], v[22:23], v[16:17]
	v_add_f64 v[43:44], v[43:44], v[45:46]
	v_add_f64 v[45:46], v[53:54], -v[49:50]
	v_add_f64 v[24:25], v[20:21], v[22:23]
	v_add_f64 v[38:39], v[38:39], -v[45:46]
	v_add_f64 v[45:46], v[53:54], -v[45:46]
	v_cvt_i32_f64_e32 v11, v[24:25]
	v_add_f64 v[45:46], v[49:50], -v[45:46]
	v_cvt_f64_i32_e32 v[24:25], v11
	v_add_f64 v[22:23], v[22:23], -v[24:25]
	v_add_f64 v[38:39], v[38:39], v[45:46]
	v_add_f64 v[24:25], v[20:21], v[22:23]
	;; [unrolled: 1-line block ×3, first 2 shown]
	v_add_f64 v[22:23], v[24:25], -v[22:23]
	v_cmp_le_f64_e32 vcc, 0.5, v[24:25]
	v_add_f64 v[9:10], v[9:10], v[38:39]
	v_add_f64 v[20:21], v[20:21], -v[22:23]
	v_addc_co_u32_e64 v29, s[2:3], 0, v11, vcc
	v_add_f64 v[9:10], v[41:42], v[9:10]
	v_mov_b32_e32 v11, 0x3ff00000
	v_cndmask_b32_e32 v17, 0, v11, vcc
	v_mov_b32_e32 v11, v16
	buffer_store_dword v11, off, s[96:99], 0 ; 4-byte Folded Spill
	s_nop 0
	buffer_store_dword v12, off, s[96:99], 0 offset:4 ; 4-byte Folded Spill
	v_add_f64 v[9:10], v[9:10], v[20:21]
	v_add_f64 v[20:21], v[24:25], -v[16:17]
	v_add_f64 v[22:23], v[20:21], v[9:10]
	v_add_f64 v[20:21], v[22:23], -v[20:21]
	v_add_f64 v[9:10], v[9:10], -v[20:21]
	v_mul_f64 v[20:21], v[22:23], s[58:59]
	v_fma_f64 v[24:25], v[22:23], s[58:59], -v[20:21]
	v_fma_f64 v[22:23], v[22:23], s[72:73], v[24:25]
	v_fma_f64 v[9:10], v[9:10], s[58:59], v[22:23]
	v_add_f64 v[27:28], v[20:21], v[9:10]
	v_add_f64 v[20:21], v[27:28], -v[20:21]
	v_add_f64 v[38:39], v[9:10], -v[20:21]
	s_andn2_saveexec_b64 s[2:3], s[8:9]
	s_cbranch_execnz .LBB1_108
	s_branch .LBB1_109
.LBB1_107:                              ;   in Loop: Header=BB1_93 Depth=3
	s_andn2_saveexec_b64 s[2:3], s[8:9]
	s_cbranch_execz .LBB1_109
.LBB1_108:                              ;   in Loop: Header=BB1_93 Depth=3
	v_mul_f64 v[9:10], |v[0:1]|, s[62:63]
	s_mov_b32 s52, s64
	v_rndne_f64_e32 v[9:10], v[9:10]
	v_fma_f64 v[20:21], v[9:10], s[60:61], |v[0:1]|
	v_mul_f64 v[22:23], v[9:10], s[64:65]
	v_cvt_i32_f64_e32 v29, v[9:10]
	v_add_f64 v[24:25], v[20:21], v[22:23]
	v_add_f64 v[27:28], v[20:21], -v[24:25]
	v_fma_f64 v[20:21], v[9:10], s[64:65], v[20:21]
	v_add_f64 v[27:28], v[27:28], v[22:23]
	v_add_f64 v[24:25], v[24:25], -v[20:21]
	v_fma_f64 v[22:23], v[9:10], s[52:53], v[22:23]
	v_add_f64 v[24:25], v[24:25], v[27:28]
	v_add_f64 v[22:23], v[24:25], -v[22:23]
	v_fma_f64 v[22:23], v[9:10], s[18:19], v[22:23]
	v_add_f64 v[27:28], v[20:21], v[22:23]
	v_add_f64 v[20:21], v[27:28], -v[20:21]
	v_add_f64 v[38:39], v[22:23], -v[20:21]
.LBB1_109:                              ;   in Loop: Header=BB1_93 Depth=3
	s_or_b64 exec, exec, s[2:3]
	v_mul_f64 v[9:10], v[3:4], v[3:4]
	s_mov_b32 s2, 0xb42fdfa7
	s_mov_b32 s3, 0xbe5ae600
	v_mul_f64 v[43:44], v[5:6], 0.5
	buffer_load_dword v50, off, s[96:99], 0 offset:72 ; 4-byte Folded Reload
	buffer_load_dword v51, off, s[96:99], 0 offset:76 ; 4-byte Folded Reload
	s_mov_b32 s44, s30
	v_lshlrev_b32_e32 v11, 30, v40
	v_xor_b32_e32 v11, v11, v2
	v_mul_f64 v[20:21], v[9:10], 0.5
	v_mul_f64 v[45:46], v[3:4], -v[9:10]
	v_and_b32_e32 v11, 0x80000000, v11
	buffer_load_dword v16, off, s[96:99], 0 offset:352 ; 4-byte Folded Reload
	buffer_load_dword v17, off, s[96:99], 0 offset:356 ; 4-byte Folded Reload
	s_mov_b32 s92, s76
	s_mov_b32 s94, s78
	;; [unrolled: 1-line block ×3, first 2 shown]
                                        ; implicit-def: $vgpr54
	v_add_f64 v[22:23], -v[20:21], 1.0
	v_add_f64 v[24:25], -v[22:23], 1.0
	v_add_f64 v[20:21], v[24:25], -v[20:21]
	v_mov_b32_e32 v25, s3
	v_mov_b32_e32 v24, s2
	v_fma_f64 v[41:42], v[9:10], s[36:37], v[24:25]
	s_mov_b32 s2, 0x9037ab78
	s_mov_b32 s3, 0x3e21eeb6
	v_fma_f64 v[20:21], v[3:4], -v[5:6], v[20:21]
	v_fma_f64 v[41:42], v[9:10], v[41:42], s[38:39]
	v_fma_f64 v[41:42], v[9:10], v[41:42], s[40:41]
	;; [unrolled: 1-line block ×4, first 2 shown]
	v_fma_f64 v[5:6], v[9:10], v[41:42], -v[5:6]
	v_mov_b32_e32 v42, s3
	v_mov_b32_e32 v41, s2
	v_fma_f64 v[43:44], v[9:10], s[22:23], v[41:42]
	v_fma_f64 v[5:6], v[45:46], s[44:45], v[5:6]
	v_fma_f64 v[43:44], v[9:10], v[43:44], s[24:25]
	v_add_f64 v[2:3], v[3:4], -v[5:6]
	v_and_b32_e32 v6, 1, v40
	v_cmp_eq_u32_e32 vcc, 0, v6
	v_fma_f64 v[43:44], v[9:10], v[43:44], s[26:27]
	v_mov_b32_e32 v6, 0x3c9cd2b2
	v_fma_f64 v[43:44], v[9:10], v[43:44], s[28:29]
	v_fma_f64 v[43:44], v[9:10], v[43:44], s[30:31]
	v_mul_f64 v[9:10], v[9:10], v[9:10]
	v_fma_f64 v[9:10], v[9:10], v[43:44], v[20:21]
	v_mul_f64 v[20:21], v[27:28], v[27:28]
	v_add_f64 v[9:10], v[22:23], v[9:10]
	v_mul_f64 v[43:44], v[20:21], 0.5
	v_fma_f64 v[4:5], v[20:21], s[22:23], v[41:42]
	v_fma_f64 v[22:23], v[20:21], s[36:37], v[24:25]
	v_cndmask_b32_e32 v3, v10, v3, vcc
	v_add_f64 v[45:46], -v[43:44], 1.0
	v_fma_f64 v[4:5], v[20:21], v[4:5], s[24:25]
	v_fma_f64 v[22:23], v[20:21], v[22:23], s[38:39]
	v_cndmask_b32_e32 v2, v9, v2, vcc
	v_xor_b32_e32 v3, v3, v11
	v_mov_b32_e32 v11, 0x7ff80000
	v_cndmask_b32_e64 v2, 0, v2, s[0:1]
	v_cndmask_b32_e64 v3, v11, v3, s[0:1]
	v_add_f64 v[47:48], -v[45:46], 1.0
	v_fma_f64 v[4:5], v[20:21], v[4:5], s[26:27]
	v_mul_f64 v[9:10], v[20:21], v[20:21]
	v_mul_f64 v[40:41], v[2:3], v[2:3]
	v_cmp_gt_f64_e64 s[2:3], s[50:51], v[2:3]
	v_fma_f64 v[22:23], v[20:21], v[22:23], s[40:41]
	v_add_f64 v[43:44], v[47:48], -v[43:44]
	v_fma_f64 v[4:5], v[20:21], v[4:5], s[28:29]
	v_fma_f64 v[22:23], v[20:21], v[22:23], s[42:43]
	v_fma_f64 v[24:25], v[27:28], -v[38:39], v[43:44]
	v_fma_f64 v[4:5], v[20:21], v[4:5], s[30:31]
	v_fma_f64 v[4:5], v[9:10], v[4:5], v[24:25]
	v_cndmask_b32_e64 v25, v41, v6, s[2:3]
	v_mov_b32_e32 v6, 0x97d889bc
	v_cndmask_b32_e64 v24, v40, v6, s[2:3]
	v_mul_f64 v[9:10], v[38:39], 0.5
	v_mul_f64 v[40:41], v[27:28], -v[20:21]
	v_mul_f64 v[42:43], v[24:25], v[24:25]
	v_add_f64 v[5:6], v[45:46], v[4:5]
	v_and_b32_e32 v4, 1, v29
	v_fma_f64 v[9:10], v[40:41], v[22:23], v[9:10]
	s_waitcnt vmcnt(2)
	v_div_scale_f64 v[22:23], s[0:1], v[42:43], v[42:43], v[50:51]
	v_cmp_class_f64_e64 s[0:1], v[0:1], s6
	v_lshlrev_b32_e32 v0, 30, v29
	v_and_b32_e32 v0, 0x80000000, v0
	v_fma_f64 v[9:10], v[20:21], v[9:10], -v[38:39]
	v_fma_f64 v[9:10], v[40:41], s[44:45], v[9:10]
	v_rcp_f64_e32 v[20:21], v[22:23]
	v_add_f64 v[9:10], v[27:28], -v[9:10]
	v_xor_b32_e32 v10, 0x80000000, v10
	v_fma_f64 v[24:25], -v[22:23], v[20:21], 1.0
	v_fma_f64 v[20:21], v[20:21], v[24:25], v[20:21]
	v_fma_f64 v[24:25], -v[22:23], v[20:21], 1.0
	v_fma_f64 v[20:21], v[20:21], v[24:25], v[20:21]
	v_div_scale_f64 v[24:25], vcc, v[50:51], v[42:43], v[50:51]
	v_mul_f64 v[38:39], v[24:25], v[20:21]
	v_fma_f64 v[22:23], -v[22:23], v[38:39], v[24:25]
	s_waitcnt vmcnt(0)
	v_mul_f64 v[24:25], v[18:19], -v[16:17]
	buffer_load_dword v16, off, s[96:99], 0 offset:40 ; 4-byte Folded Reload
	buffer_load_dword v17, off, s[96:99], 0 offset:44 ; 4-byte Folded Reload
	s_nop 0
	buffer_store_dword v24, off, s[96:99], 0 offset:64 ; 4-byte Folded Spill
	s_nop 0
	buffer_store_dword v25, off, s[96:99], 0 offset:68 ; 4-byte Folded Spill
	v_div_fmas_f64 v[20:21], v[22:23], v[20:21], v[38:39]
	v_fma_f64 v[22:23], v[12:13], -2.0, v[57:58]
	v_cmp_eq_u32_e32 vcc, 0, v4
	v_cndmask_b32_e32 v9, v9, v5, vcc
	v_cndmask_b32_e32 v6, v10, v6, vcc
	v_xor_b32_e32 v0, v6, v0
	v_cndmask_b32_e64 v10, 0, v9, s[0:1]
	v_cndmask_b32_e64 v11, v11, v0, s[0:1]
	v_mov_b32_e32 v0, 0x3e45798e
	v_cndmask_b32_e64 v3, v3, v0, s[2:3]
	v_mov_b32_e32 v0, 0xe2308c3a
	v_cndmask_b32_e64 v2, v2, v0, s[2:3]
	v_mul_f64 v[2:3], -v[2:3], v[7:8]
	v_div_fixup_f64 v[20:21], v[20:21], v[42:43], v[50:51]
	s_waitcnt vmcnt(2)
	v_fma_f64 v[38:39], v[24:25], s[90:91], v[16:17]
	buffer_load_dword v16, off, s[96:99], 0 offset:56 ; 4-byte Folded Reload
	buffer_load_dword v17, off, s[96:99], 0 offset:60 ; 4-byte Folded Reload
	;; [unrolled: 1-line block ×6, first 2 shown]
	s_waitcnt vmcnt(4)
	v_add_f64 v[40:41], v[16:17], v[22:23]
	s_waitcnt vmcnt(0)
	v_fma_f64 v[4:5], v[24:25], s[76:77], v[4:5]
	v_add_f64 v[6:7], v[20:21], -v[16:17]
                                        ; implicit-def: $vgpr20_vgpr21
	v_mul_f64 v[22:23], v[40:41], -v[38:39]
	v_mul_f64 v[2:3], v[6:7], v[2:3]
	v_mul_f64 v[22:23], v[22:23], v[14:15]
	v_mul_f64 v[2:3], v[2:3], v[14:15]
	v_mul_f64 v[22:23], v[18:19], v[22:23]
	buffer_store_dword v22, off, s[96:99], 0 offset:120 ; 4-byte Folded Spill
	s_nop 0
	buffer_store_dword v23, off, s[96:99], 0 offset:124 ; 4-byte Folded Spill
	buffer_load_dword v6, off, s[96:99], 0 offset:48 ; 4-byte Folded Reload
	buffer_load_dword v7, off, s[96:99], 0 offset:52 ; 4-byte Folded Reload
	buffer_load_dword v8, off, s[96:99], 0 offset:16 ; 4-byte Folded Reload
	buffer_load_dword v9, off, s[96:99], 0 offset:20 ; 4-byte Folded Reload
	v_mul_f64 v[2:3], v[18:19], v[2:3]
	v_fma_f64 v[4:5], v[22:23], s[78:79], v[4:5]
	v_mul_f64 v[22:23], v[10:11], v[10:11]
	s_waitcnt vmcnt(0)
	v_fma_f64 v[6:7], v[8:9], s[76:77], v[6:7]
	v_mul_f64 v[24:25], v[4:5], v[4:5]
	v_fma_f64 v[24:25], v[16:17], v[22:23], v[24:25]
	v_div_scale_f64 v[22:23], s[8:9], v[24:25], v[24:25], 1.0
	v_rcp_f64_e32 v[44:45], v[22:23]
	v_fma_f64 v[46:47], -v[22:23], v[44:45], 1.0
	v_fma_f64 v[44:45], v[44:45], v[46:47], v[44:45]
	v_fma_f64 v[46:47], -v[22:23], v[44:45], 1.0
	v_fma_f64 v[44:45], v[44:45], v[46:47], v[44:45]
	v_div_scale_f64 v[46:47], vcc, 1.0, v[24:25], 1.0
	buffer_store_dword v24, off, s[96:99], 0 offset:160 ; 4-byte Folded Spill
	s_nop 0
	buffer_store_dword v25, off, s[96:99], 0 offset:164 ; 4-byte Folded Spill
	buffer_store_dword v2, off, s[96:99], 0 offset:128 ; 4-byte Folded Spill
	s_nop 0
	buffer_store_dword v3, off, s[96:99], 0 offset:132 ; 4-byte Folded Spill
	v_mul_f64 v[48:49], v[46:47], v[44:45]
	v_fma_f64 v[22:23], -v[22:23], v[48:49], v[46:47]
	v_div_fmas_f64 v[22:23], v[22:23], v[44:45], v[48:49]
	v_div_fixup_f64 v[44:45], v[22:23], v[24:25], 1.0
	v_fma_f64 v[2:3], v[2:3], s[78:79], v[6:7]
	buffer_load_dword v6, off, s[96:99], 0 offset:24 ; 4-byte Folded Reload
	buffer_load_dword v7, off, s[96:99], 0 offset:28 ; 4-byte Folded Reload
                                        ; implicit-def: $vgpr22_vgpr23
	v_mul_f64 v[2:3], v[44:45], -v[2:3]
	v_mul_f64 v[2:3], v[18:19], v[2:3]
	buffer_store_dword v2, off, s[96:99], 0 offset:104 ; 4-byte Folded Spill
	s_nop 0
	buffer_store_dword v3, off, s[96:99], 0 offset:108 ; 4-byte Folded Spill
	s_waitcnt vmcnt(2)
	v_fma_f64 v[6:7], v[59:60], s[92:93], v[6:7]
	v_fma_f64 v[6:7], v[34:35], s[94:95], v[6:7]
	;; [unrolled: 1-line block ×3, first 2 shown]
	v_trig_preop_f64 v[46:47], |v[2:3]|, 0
	v_trig_preop_f64 v[8:9], |v[2:3]|, 1
	;; [unrolled: 1-line block ×3, first 2 shown]
	v_cmp_nlt_f64_e64 s[8:9], |v[2:3]|, s[54:55]
	v_ldexp_f64 v[50:51], |v[2:3]|, s33
	v_and_b32_e32 v0, 0x7fffffff, v3
	s_mov_b64 s[2:3], exec
	s_and_b64 vcc, s[2:3], s[8:9]
	s_xor_b64 s[68:69], vcc, s[2:3]
	buffer_store_dword v59, off, s[96:99], 0 offset:88 ; 4-byte Folded Spill
	s_nop 0
	buffer_store_dword v60, off, s[96:99], 0 offset:92 ; 4-byte Folded Spill
	s_mov_b64 exec, vcc
	s_cbranch_execz .LBB1_111
; %bb.110:                              ;   in Loop: Header=BB1_93 Depth=3
	v_cmp_ge_f64_e64 vcc, |v[2:3]|, s[56:57]
	v_mov_b32_e32 v28, v57
	v_mov_b32_e32 v29, v58
	s_mov_b32 s58, s60
	s_mov_b32 s73, s53
	v_cndmask_b32_e32 v43, v0, v51, vcc
	v_cndmask_b32_e32 v42, v2, v50, vcc
	v_mul_f64 v[53:54], v[46:47], v[42:43]
	v_mul_f64 v[20:21], v[8:9], v[42:43]
	;; [unrolled: 1-line block ×3, first 2 shown]
	v_fma_f64 v[55:56], v[46:47], v[42:43], -v[53:54]
	v_add_f64 v[57:58], v[20:21], v[55:56]
	v_add_f64 v[61:62], v[57:58], -v[20:21]
	v_add_f64 v[59:60], v[53:54], v[57:58]
	v_add_f64 v[55:56], v[55:56], -v[61:62]
	v_add_f64 v[61:62], v[57:58], -v[61:62]
	v_ldexp_f64 v[22:23], v[59:60], -2
	v_add_f64 v[61:62], v[20:21], -v[61:62]
	v_fract_f64_e32 v[48:49], v[22:23]
	v_cmp_neq_f64_e64 vcc, |v[22:23]|, s[74:75]
	v_add_f64 v[55:56], v[55:56], v[61:62]
	v_fma_f64 v[61:62], v[8:9], v[42:43], -v[20:21]
	v_add_f64 v[20:21], v[59:60], -v[53:54]
	buffer_load_dword v59, off, s[96:99], 0 offset:88 ; 4-byte Folded Reload
	buffer_load_dword v60, off, s[96:99], 0 offset:92 ; 4-byte Folded Reload
	v_add_f64 v[16:17], v[24:25], v[61:62]
	v_add_f64 v[53:54], v[57:58], -v[20:21]
	v_add_f64 v[26:27], v[16:17], v[55:56]
	v_add_f64 v[20:21], v[53:54], v[26:27]
	v_add_f64 v[57:58], v[26:27], -v[16:17]
	v_add_f64 v[53:54], v[20:21], -v[53:54]
	;; [unrolled: 1-line block ×6, first 2 shown]
	v_add_f64 v[26:27], v[55:56], v[26:27]
	v_add_f64 v[55:56], v[16:17], -v[24:25]
	v_add_f64 v[16:17], v[16:17], -v[55:56]
	;; [unrolled: 1-line block ×4, first 2 shown]
	v_fma_f64 v[24:25], v[6:7], v[42:43], -v[24:25]
	v_add_f64 v[16:17], v[57:58], v[16:17]
	v_mov_b32_e32 v58, v29
	v_mov_b32_e32 v57, v28
	v_add_f64 v[16:17], v[16:17], v[26:27]
	v_add_f64 v[16:17], v[24:25], v[16:17]
	;; [unrolled: 1-line block ×3, first 2 shown]
	v_ldexp_f64 v[16:17], v[48:49], 2
	v_cndmask_b32_e32 v17, 0, v17, vcc
	v_cndmask_b32_e32 v16, 0, v16, vcc
	v_add_f64 v[22:23], v[20:21], v[16:17]
	v_cmp_gt_f64_e32 vcc, 0, v[22:23]
	buffer_load_dword v22, off, s[96:99], 0 ; 4-byte Folded Reload
	buffer_load_dword v23, off, s[96:99], 0 offset:4 ; 4-byte Folded Reload
	s_waitcnt vmcnt(1)
	v_mov_b32_e32 v25, v22
	v_mov_b32_e32 v22, 0x40100000
	v_cndmask_b32_e32 v26, 0, v22, vcc
	v_add_f64 v[16:17], v[16:17], v[25:26]
	s_waitcnt vmcnt(0)
	v_add_f64 v[22:23], v[20:21], v[16:17]
	v_cvt_i32_f64_e32 v24, v[22:23]
	v_cvt_f64_i32_e32 v[22:23], v24
	v_add_f64 v[16:17], v[16:17], -v[22:23]
	v_add_f64 v[22:23], v[20:21], v[16:17]
	v_add_f64 v[16:17], v[22:23], -v[16:17]
	v_cmp_le_f64_e32 vcc, 0.5, v[22:23]
	v_add_f64 v[16:17], v[20:21], -v[16:17]
	v_mov_b32_e32 v20, 0x3ff00000
	v_cndmask_b32_e32 v26, 0, v20, vcc
	v_mov_b32_e32 v20, v25
	buffer_store_dword v20, off, s[96:99], 0 ; 4-byte Folded Spill
	s_nop 0
	buffer_store_dword v21, off, s[96:99], 0 offset:4 ; 4-byte Folded Spill
	v_add_f64 v[20:21], v[22:23], -v[25:26]
	v_addc_co_u32_e64 v54, s[2:3], 0, v24, vcc
	v_add_f64 v[16:17], v[42:43], v[16:17]
	v_add_f64 v[22:23], v[20:21], v[16:17]
	v_add_f64 v[20:21], v[22:23], -v[20:21]
	v_add_f64 v[16:17], v[16:17], -v[20:21]
	v_mul_f64 v[20:21], v[22:23], s[58:59]
	v_fma_f64 v[24:25], v[22:23], s[58:59], -v[20:21]
	v_fma_f64 v[22:23], v[22:23], s[72:73], v[24:25]
	v_fma_f64 v[16:17], v[16:17], s[58:59], v[22:23]
	v_add_f64 v[22:23], v[20:21], v[16:17]
	v_add_f64 v[20:21], v[22:23], -v[20:21]
	v_add_f64 v[20:21], v[16:17], -v[20:21]
	s_andn2_saveexec_b64 s[2:3], s[68:69]
	s_cbranch_execz .LBB1_113
	s_branch .LBB1_112
.LBB1_111:                              ;   in Loop: Header=BB1_93 Depth=3
	s_andn2_saveexec_b64 s[2:3], s[68:69]
	s_cbranch_execz .LBB1_113
.LBB1_112:                              ;   in Loop: Header=BB1_93 Depth=3
	v_mul_f64 v[20:21], |v[2:3]|, s[62:63]
	s_mov_b32 s52, s64
	v_rndne_f64_e32 v[42:43], v[20:21]
	v_fma_f64 v[20:21], v[42:43], s[60:61], |v[2:3]|
	v_mul_f64 v[22:23], v[42:43], s[64:65]
	v_add_f64 v[48:49], v[20:21], v[22:23]
	v_add_f64 v[53:54], v[20:21], -v[48:49]
	v_fma_f64 v[20:21], v[42:43], s[64:65], v[20:21]
	v_add_f64 v[53:54], v[53:54], v[22:23]
	v_add_f64 v[48:49], v[48:49], -v[20:21]
	v_fma_f64 v[22:23], v[42:43], s[52:53], v[22:23]
	v_add_f64 v[48:49], v[48:49], v[53:54]
	v_cvt_i32_f64_e32 v54, v[42:43]
	v_add_f64 v[22:23], v[48:49], -v[22:23]
	v_fma_f64 v[48:49], v[42:43], s[18:19], v[22:23]
	v_add_f64 v[22:23], v[20:21], v[48:49]
	v_add_f64 v[20:21], v[22:23], -v[20:21]
	v_add_f64 v[20:21], v[48:49], -v[20:21]
.LBB1_113:                              ;   in Loop: Header=BB1_93 Depth=3
	s_or_b64 exec, exec, s[2:3]
                                        ; implicit-def: $vgpr53
                                        ; implicit-def: $vgpr42_vgpr43
                                        ; implicit-def: $vgpr48_vgpr49
	s_and_saveexec_b64 s[2:3], s[8:9]
	s_xor_b64 s[8:9], exec, s[2:3]
	s_cbranch_execz .LBB1_115
; %bb.114:                              ;   in Loop: Header=BB1_93 Depth=3
	v_cmp_ge_f64_e64 vcc, |v[2:3]|, s[56:57]
	v_mov_b32_e32 v28, v57
	v_mov_b32_e32 v29, v58
	s_mov_b32 s58, s60
	s_mov_b32 s73, s53
	v_cndmask_b32_e32 v17, v0, v51, vcc
	v_cndmask_b32_e32 v16, v2, v50, vcc
	v_mul_f64 v[26:27], v[46:47], v[16:17]
	v_mul_f64 v[24:25], v[8:9], v[16:17]
	v_mov_b32_e32 v0, 0x40100000
	v_fma_f64 v[48:49], v[46:47], v[16:17], -v[26:27]
	v_add_f64 v[50:51], v[24:25], v[48:49]
	v_add_f64 v[57:58], v[50:51], -v[24:25]
	v_add_f64 v[55:56], v[26:27], v[50:51]
	v_add_f64 v[48:49], v[48:49], -v[57:58]
	v_add_f64 v[57:58], v[50:51], -v[57:58]
	v_ldexp_f64 v[42:43], v[55:56], -2
	v_add_f64 v[57:58], v[24:25], -v[57:58]
	v_fma_f64 v[24:25], v[8:9], v[16:17], -v[24:25]
	v_add_f64 v[8:9], v[55:56], -v[26:27]
	v_fract_f64_e32 v[46:47], v[42:43]
	v_cmp_neq_f64_e64 vcc, |v[42:43]|, s[74:75]
	v_add_f64 v[48:49], v[48:49], v[57:58]
	v_mul_f64 v[57:58], v[6:7], v[16:17]
	v_add_f64 v[26:27], v[50:51], -v[8:9]
	v_add_f64 v[59:60], v[57:58], v[24:25]
	v_fma_f64 v[6:7], v[6:7], v[16:17], -v[57:58]
	v_ldexp_f64 v[16:17], v[46:47], 2
	v_add_f64 v[61:62], v[59:60], v[48:49]
	v_cndmask_b32_e32 v17, 0, v17, vcc
	v_cndmask_b32_e32 v16, 0, v16, vcc
	v_add_f64 v[50:51], v[61:62], -v[59:60]
	v_add_f64 v[8:9], v[26:27], v[61:62]
	v_add_f64 v[48:49], v[48:49], -v[50:51]
	v_add_f64 v[50:51], v[61:62], -v[50:51]
	;; [unrolled: 1-line block ×5, first 2 shown]
	v_add_f64 v[48:49], v[48:49], v[50:51]
	v_add_f64 v[50:51], v[59:60], -v[57:58]
	v_add_f64 v[24:25], v[24:25], -v[50:51]
	;; [unrolled: 1-line block ×3, first 2 shown]
	buffer_load_dword v59, off, s[96:99], 0 offset:88 ; 4-byte Folded Reload
	buffer_load_dword v60, off, s[96:99], 0 offset:92 ; 4-byte Folded Reload
	v_add_f64 v[50:51], v[57:58], -v[50:51]
	v_mov_b32_e32 v58, v29
	v_mov_b32_e32 v57, v28
	v_add_f64 v[24:25], v[24:25], v[50:51]
	v_add_f64 v[24:25], v[24:25], v[48:49]
	v_add_f64 v[6:7], v[6:7], v[24:25]
	v_add_f64 v[24:25], v[8:9], v[16:17]
	v_add_f64 v[6:7], v[26:27], v[6:7]
	v_cmp_gt_f64_e32 vcc, 0, v[24:25]
	buffer_load_dword v24, off, s[96:99], 0 ; 4-byte Folded Reload
	buffer_load_dword v25, off, s[96:99], 0 offset:4 ; 4-byte Folded Reload
	v_cndmask_b32_e32 v27, 0, v0, vcc
	s_waitcnt vmcnt(1)
	v_mov_b32_e32 v26, v24
	v_add_f64 v[16:17], v[16:17], v[26:27]
	s_waitcnt vmcnt(0)
	v_add_f64 v[24:25], v[8:9], v[16:17]
	v_cvt_i32_f64_e32 v0, v[24:25]
	v_cvt_f64_i32_e32 v[24:25], v0
	v_add_f64 v[16:17], v[16:17], -v[24:25]
	v_add_f64 v[24:25], v[8:9], v[16:17]
	v_add_f64 v[16:17], v[24:25], -v[16:17]
	v_cmp_le_f64_e32 vcc, 0.5, v[24:25]
	v_add_f64 v[8:9], v[8:9], -v[16:17]
	v_addc_co_u32_e64 v53, s[2:3], 0, v0, vcc
	v_mov_b32_e32 v0, 0x3ff00000
	v_cndmask_b32_e32 v27, 0, v0, vcc
	v_mov_b32_e32 v0, v26
	buffer_store_dword v0, off, s[96:99], 0 ; 4-byte Folded Spill
	s_nop 0
	buffer_store_dword v1, off, s[96:99], 0 offset:4 ; 4-byte Folded Spill
	v_add_f64 v[6:7], v[6:7], v[8:9]
	v_add_f64 v[8:9], v[24:25], -v[26:27]
	v_add_f64 v[16:17], v[8:9], v[6:7]
	v_add_f64 v[8:9], v[16:17], -v[8:9]
	v_add_f64 v[6:7], v[6:7], -v[8:9]
	v_mul_f64 v[8:9], v[16:17], s[58:59]
	v_fma_f64 v[24:25], v[16:17], s[58:59], -v[8:9]
	v_fma_f64 v[16:17], v[16:17], s[72:73], v[24:25]
	v_fma_f64 v[6:7], v[6:7], s[58:59], v[16:17]
	v_add_f64 v[42:43], v[8:9], v[6:7]
	v_add_f64 v[8:9], v[42:43], -v[8:9]
	v_add_f64 v[48:49], v[6:7], -v[8:9]
	s_andn2_saveexec_b64 s[2:3], s[8:9]
	s_cbranch_execnz .LBB1_116
	s_branch .LBB1_117
.LBB1_115:                              ;   in Loop: Header=BB1_93 Depth=3
	s_andn2_saveexec_b64 s[2:3], s[8:9]
	s_cbranch_execz .LBB1_117
.LBB1_116:                              ;   in Loop: Header=BB1_93 Depth=3
	v_mul_f64 v[6:7], |v[2:3]|, s[62:63]
	s_mov_b32 s52, s64
	v_rndne_f64_e32 v[6:7], v[6:7]
	v_fma_f64 v[8:9], v[6:7], s[60:61], |v[2:3]|
	v_mul_f64 v[16:17], v[6:7], s[64:65]
	v_cvt_i32_f64_e32 v53, v[6:7]
	v_add_f64 v[24:25], v[8:9], v[16:17]
	v_add_f64 v[26:27], v[8:9], -v[24:25]
	v_fma_f64 v[8:9], v[6:7], s[64:65], v[8:9]
	v_add_f64 v[26:27], v[26:27], v[16:17]
	v_add_f64 v[24:25], v[24:25], -v[8:9]
	v_fma_f64 v[16:17], v[6:7], s[52:53], v[16:17]
	;; [unrolled: 3-line block ×3, first 2 shown]
	v_add_f64 v[42:43], v[8:9], v[16:17]
	v_add_f64 v[8:9], v[42:43], -v[8:9]
	v_add_f64 v[48:49], v[16:17], -v[8:9]
.LBB1_117:                              ;   in Loop: Header=BB1_93 Depth=3
	s_or_b64 exec, exec, s[2:3]
	buffer_load_dword v6, off, s[96:99], 0 offset:32 ; 4-byte Folded Reload
	buffer_load_dword v7, off, s[96:99], 0 offset:36 ; 4-byte Folded Reload
	;; [unrolled: 1-line block ×4, first 2 shown]
	s_mov_b32 s92, s76
	v_add_f64 v[8:9], v[12:13], v[12:13]
	v_add_f64 v[12:13], v[12:13], -1.0
	s_mov_b32 s94, s78
	s_mov_b32 s44, s30
	v_and_b32_e32 v0, 1, v52
	s_mov_b32 s14, s76
	s_mov_b32 s66, s70
	s_waitcnt vmcnt(0)
	v_fma_f64 v[16:17], v[16:17], s[92:93], v[6:7]
	buffer_load_dword v6, off, s[96:99], 0 offset:24 ; 4-byte Folded Reload
	buffer_load_dword v7, off, s[96:99], 0 offset:28 ; 4-byte Folded Reload
	s_waitcnt vmcnt(0)
	v_fma_f64 v[24:25], v[59:60], s[80:81], v[6:7]
	buffer_load_dword v6, off, s[96:99], 0 offset:40 ; 4-byte Folded Reload
	buffer_load_dword v7, off, s[96:99], 0 offset:44 ; 4-byte Folded Reload
	;; [unrolled: 1-line block ×4, first 2 shown]
	s_waitcnt vmcnt(0)
	v_fma_f64 v[6:7], v[26:27], s[76:77], v[6:7]
	buffer_load_dword v26, off, s[96:99], 0 offset:48 ; 4-byte Folded Reload
	buffer_load_dword v27, off, s[96:99], 0 offset:52 ; 4-byte Folded Reload
	;; [unrolled: 1-line block ×4, first 2 shown]
	s_waitcnt vmcnt(0)
	v_fma_f64 v[46:47], v[28:29], s[92:93], v[26:27]
	v_mul_f64 v[26:27], v[40:41], v[30:31]
	buffer_load_dword v28, off, s[96:99], 0 offset:56 ; 4-byte Folded Reload
	buffer_load_dword v29, off, s[96:99], 0 offset:60 ; 4-byte Folded Reload
	v_div_scale_f64 v[30:31], s[2:3], v[26:27], v[26:27], 1.0
	s_mov_b32 s2, 0xb42fdfa7
	s_mov_b32 s3, 0xbe5ae600
	v_rcp_f64_e32 v[40:41], v[30:31]
	v_fma_f64 v[50:51], -v[30:31], v[40:41], 1.0
	v_fma_f64 v[40:41], v[40:41], v[50:51], v[40:41]
	v_fma_f64 v[50:51], -v[30:31], v[40:41], 1.0
	v_fma_f64 v[40:41], v[40:41], v[50:51], v[40:41]
	v_div_scale_f64 v[50:51], vcc, 1.0, v[26:27], 1.0
	v_mul_f64 v[55:56], v[50:51], v[40:41]
	v_fma_f64 v[30:31], -v[30:31], v[55:56], v[50:51]
	s_nop 1
	v_div_fmas_f64 v[30:31], v[30:31], v[40:41], v[55:56]
	buffer_load_dword v40, off, s[96:99], 0 offset:144 ; 4-byte Folded Reload
	buffer_load_dword v41, off, s[96:99], 0 offset:148 ; 4-byte Folded Reload
	v_cmp_eq_u32_e32 vcc, 0, v0
	v_div_fixup_f64 v[26:27], v[30:31], v[26:27], 1.0
	s_waitcnt vmcnt(2)
	v_add_f64 v[30:31], v[28:29], v[57:58]
	s_waitcnt vmcnt(0)
	v_mul_f64 v[40:41], v[40:41], v[12:13]
	v_fma_f64 v[8:9], v[8:9], v[30:31], -v[40:41]
	buffer_load_dword v30, off, s[96:99], 0 offset:80 ; 4-byte Folded Reload
	buffer_load_dword v31, off, s[96:99], 0 offset:84 ; 4-byte Folded Reload
	s_waitcnt vmcnt(0)
	v_add_f64 v[8:9], v[8:9], -v[30:31]
	v_add_f64 v[30:31], v[38:39], v[38:39]
	v_mul_f64 v[30:31], v[38:39], v[30:31]
	v_mul_f64 v[12:13], v[12:13], v[30:31]
	v_mov_b32_e32 v31, s3
	v_mov_b32_e32 v30, s2
	s_mov_b32 s2, 0x9037ab78
	s_mov_b32 s3, 0x3e21eeb6
	v_mov_b32_e32 v39, s3
	v_mov_b32_e32 v38, s2
	v_mul_f64 v[12:13], v[12:13], v[14:15]
	v_mul_f64 v[14:15], v[32:33], v[32:33]
	v_fma_f64 v[8:9], v[8:9], v[26:27], -v[12:13]
	buffer_load_dword v12, off, s[96:99], 0 offset:120 ; 4-byte Folded Reload
	buffer_load_dword v13, off, s[96:99], 0 offset:124 ; 4-byte Folded Reload
	v_mul_f64 v[26:27], v[36:37], 0.5
	v_fma_f64 v[50:51], v[14:15], s[22:23], v[38:39]
	v_mul_f64 v[8:9], v[18:19], -v[8:9]
	buffer_store_dword v8, off, s[96:99], 0 offset:136 ; 4-byte Folded Spill
	s_nop 0
	buffer_store_dword v9, off, s[96:99], 0 offset:140 ; 4-byte Folded Spill
	v_fma_f64 v[50:51], v[14:15], v[50:51], s[24:25]
	v_fma_f64 v[50:51], v[14:15], v[50:51], s[26:27]
	;; [unrolled: 1-line block ×3, first 2 shown]
	s_waitcnt vmcnt(2)
	v_fma_f64 v[12:13], v[12:13], s[94:95], v[16:17]
	v_fma_f64 v[16:17], v[34:35], s[82:83], v[24:25]
	;; [unrolled: 1-line block ×5, first 2 shown]
	buffer_load_dword v6, off, s[96:99], 0 offset:128 ; 4-byte Folded Reload
	buffer_load_dword v7, off, s[96:99], 0 offset:132 ; 4-byte Folded Reload
	v_fma_f64 v[24:25], v[14:15], v[24:25], s[40:41]
	v_fma_f64 v[24:25], v[14:15], v[24:25], s[42:43]
	s_waitcnt vmcnt(0)
	v_fma_f64 v[40:41], v[6:7], s[94:95], v[46:47]
	v_mul_f64 v[6:7], v[32:33], -v[14:15]
	v_mul_f64 v[46:47], v[14:15], v[14:15]
	v_fma_f64 v[24:25], v[6:7], v[24:25], v[26:27]
	v_fma_f64 v[24:25], v[14:15], v[24:25], -v[36:37]
	v_fma_f64 v[6:7], v[6:7], s[44:45], v[24:25]
	v_mul_f64 v[24:25], v[14:15], 0.5
	v_fma_f64 v[14:15], v[14:15], v[50:51], s[30:31]
	v_add_f64 v[6:7], v[32:33], -v[6:7]
	v_add_f64 v[26:27], -v[24:25], 1.0
	v_add_f64 v[50:51], -v[26:27], 1.0
	v_add_f64 v[24:25], v[50:51], -v[24:25]
	v_mov_b32_e32 v50, 0x7ff80000
	v_fma_f64 v[24:25], v[32:33], -v[36:37], v[24:25]
	v_fma_f64 v[14:15], v[46:47], v[14:15], v[24:25]
	v_add_f64 v[14:15], v[26:27], v[14:15]
	v_mov_b32_e32 v26, 0x3e45798e
	v_cndmask_b32_e32 v0, v14, v6, vcc
	v_cndmask_b32_e32 v6, v15, v7, vcc
	v_lshlrev_b32_e32 v7, 30, v52
	v_xor_b32_e32 v1, v7, v1
	v_and_b32_e32 v1, 0x80000000, v1
	v_xor_b32_e32 v1, v6, v1
	v_cndmask_b32_e64 v0, 0, v0, s[0:1]
	v_cndmask_b32_e64 v1, v50, v1, s[0:1]
	v_mul_f64 v[6:7], v[0:1], v[0:1]
	v_cmp_gt_f64_e32 vcc, s[50:51], v[0:1]
	v_mov_b32_e32 v14, 0x3c9cd2b2
	v_cndmask_b32_e32 v15, v7, v14, vcc
	v_mov_b32_e32 v7, 0x97d889bc
	v_cndmask_b32_e32 v14, v6, v7, vcc
	buffer_store_dword v14, off, s[96:99], 0 offset:208 ; 4-byte Folded Spill
	s_nop 0
	buffer_store_dword v15, off, s[96:99], 0 offset:212 ; 4-byte Folded Spill
	buffer_load_dword v51, off, s[96:99], 0 offset:72 ; 4-byte Folded Reload
	buffer_load_dword v52, off, s[96:99], 0 offset:76 ; 4-byte Folded Reload
	v_cndmask_b32_e32 v1, v1, v26, vcc
	v_mov_b32_e32 v26, 0xe2308c3a
	v_cndmask_b32_e32 v0, v0, v26, vcc
	v_mul_f64 v[0:1], -v[0:1], v[10:11]
	v_mul_f64 v[6:7], v[4:5], v[4:5]
	v_fma_f64 v[6:7], v[4:5], -2.0, v[6:7]
	v_add_f64 v[6:7], v[28:29], v[6:7]
	v_mul_f64 v[24:25], v[6:7], -v[8:9]
	v_mul_f64 v[24:25], v[24:25], v[44:45]
	v_mul_f64 v[10:11], v[14:15], v[14:15]
	s_waitcnt vmcnt(0)
	v_div_scale_f64 v[26:27], s[0:1], v[10:11], v[10:11], v[51:52]
	v_cmp_class_f64_e64 s[0:1], v[2:3], s6
	v_lshlrev_b32_e32 v2, 30, v53
	v_and_b32_e32 v2, 0x80000000, v2
	v_rcp_f64_e32 v[32:33], v[26:27]
	v_fma_f64 v[36:37], -v[26:27], v[32:33], 1.0
	v_fma_f64 v[32:33], v[32:33], v[36:37], v[32:33]
	v_fma_f64 v[36:37], -v[26:27], v[32:33], 1.0
	v_fma_f64 v[32:33], v[32:33], v[36:37], v[32:33]
	v_div_scale_f64 v[36:37], vcc, v[51:52], v[10:11], v[51:52]
	v_mul_f64 v[46:47], v[36:37], v[32:33]
	v_fma_f64 v[26:27], -v[26:27], v[46:47], v[36:37]
	s_nop 1
	v_div_fmas_f64 v[26:27], v[26:27], v[32:33], v[46:47]
	v_div_fixup_f64 v[10:11], v[26:27], v[10:11], v[51:52]
	v_add_f64 v[10:11], v[10:11], -v[28:29]
	v_mul_f64 v[0:1], v[10:11], v[0:1]
	v_mul_f64 v[10:11], v[0:1], v[44:45]
	;; [unrolled: 1-line block ×3, first 2 shown]
	buffer_store_dword v0, off, s[96:99], 0 offset:96 ; 4-byte Folded Spill
	s_nop 0
	buffer_store_dword v1, off, s[96:99], 0 offset:100 ; 4-byte Folded Spill
	v_mul_f64 v[24:25], v[42:43], v[42:43]
	v_fma_f64 v[36:37], v[24:25], s[22:23], v[38:39]
	v_fma_f64 v[36:37], v[24:25], v[36:37], s[24:25]
	v_fma_f64 v[36:37], v[24:25], v[36:37], s[26:27]
	v_fma_f64 v[36:37], v[24:25], v[36:37], s[28:29]
	v_fma_f64 v[36:37], v[24:25], v[36:37], s[30:31]
	v_fma_f64 v[14:15], v[0:1], s[14:15], v[12:13]
	buffer_load_dword v0, off, s[96:99], 0 offset:104 ; 4-byte Folded Reload
	buffer_load_dword v1, off, s[96:99], 0 offset:108 ; 4-byte Folded Reload
	s_waitcnt vmcnt(0)
	v_fma_f64 v[12:13], v[0:1], s[70:71], v[16:17]
	v_mul_f64 v[0:1], v[18:19], v[10:11]
	v_mul_f64 v[10:11], v[24:25], 0.5
	buffer_store_dword v0, off, s[96:99], 0 offset:112 ; 4-byte Folded Spill
	s_nop 0
	buffer_store_dword v1, off, s[96:99], 0 offset:116 ; 4-byte Folded Spill
	v_add_f64 v[26:27], -v[10:11], 1.0
	buffer_store_dword v14, off, s[96:99], 0 offset:168 ; 4-byte Folded Spill
	s_nop 0
	buffer_store_dword v15, off, s[96:99], 0 offset:172 ; 4-byte Folded Spill
	v_add_f64 v[32:33], -v[26:27], 1.0
	v_add_f64 v[10:11], v[32:33], -v[10:11]
	v_mul_f64 v[32:33], v[24:25], v[24:25]
	v_fma_f64 v[10:11], v[42:43], -v[48:49], v[10:11]
	v_fma_f64 v[10:11], v[32:33], v[36:37], v[10:11]
	v_mul_f64 v[32:33], v[48:49], 0.5
	v_add_f64 v[10:11], v[26:27], v[10:11]
	v_fma_f64 v[26:27], v[24:25], s[36:37], v[30:31]
	v_mul_f64 v[30:31], v[42:43], -v[24:25]
	v_fma_f64 v[26:27], v[24:25], v[26:27], s[38:39]
	v_fma_f64 v[26:27], v[24:25], v[26:27], s[40:41]
	;; [unrolled: 1-line block ×5, first 2 shown]
	v_and_b32_e32 v1, 1, v53
	v_cmp_eq_u32_e32 vcc, 0, v1
	v_fma_f64 v[32:33], v[24:25], v[26:27], -v[48:49]
	v_mul_f64 v[61:62], v[14:15], v[14:15]
	v_fma_f64 v[24:25], v[30:31], s[44:45], v[32:33]
	v_add_f64 v[24:25], v[42:43], -v[24:25]
	v_xor_b32_e32 v0, 0x80000000, v25
	v_cndmask_b32_e32 v0, v0, v11, vcc
	v_cndmask_b32_e32 v1, v24, v10, vcc
	v_xor_b32_e32 v0, v0, v2
	v_cndmask_b32_e64 v10, 0, v1, s[0:1]
	v_cndmask_b32_e64 v11, v50, v0, s[0:1]
	v_mul_f64 v[24:25], v[10:11], v[10:11]
	v_fma_f64 v[50:51], v[28:29], v[24:25], v[61:62]
	v_div_scale_f64 v[24:25], s[2:3], v[50:51], v[50:51], 1.0
	v_rcp_f64_e32 v[26:27], v[24:25]
	v_fma_f64 v[30:31], -v[24:25], v[26:27], 1.0
	v_fma_f64 v[26:27], v[26:27], v[30:31], v[26:27]
	v_fma_f64 v[30:31], -v[24:25], v[26:27], 1.0
	v_fma_f64 v[26:27], v[26:27], v[30:31], v[26:27]
	v_div_scale_f64 v[30:31], vcc, 1.0, v[50:51], 1.0
	v_mul_f64 v[32:33], v[30:31], v[26:27]
	v_fma_f64 v[24:25], -v[24:25], v[32:33], v[30:31]
	s_nop 1
	v_div_fmas_f64 v[24:25], v[24:25], v[26:27], v[32:33]
	v_div_fixup_f64 v[0:1], v[24:25], v[50:51], 1.0
	buffer_store_dword v0, off, s[96:99], 0 offset:176 ; 4-byte Folded Spill
	s_nop 0
	buffer_store_dword v1, off, s[96:99], 0 offset:180 ; 4-byte Folded Spill
	v_mul_f64 v[16:17], v[0:1], -v[16:17]
	v_mul_f64 v[0:1], v[18:19], v[16:17]
	buffer_store_dword v0, off, s[96:99], 0 offset:152 ; 4-byte Folded Spill
	s_nop 0
	buffer_store_dword v1, off, s[96:99], 0 offset:156 ; 4-byte Folded Spill
	v_fma_f64 v[32:33], v[0:1], s[66:67], v[12:13]
                                        ; implicit-def: $vgpr0
                                        ; kill: killed $vgpr0
                                        ; implicit-def: $vgpr0_vgpr1
                                        ; kill: killed $vgpr0_vgpr1
                                        ; implicit-def: $vgpr0_vgpr1
                                        ; kill: killed $vgpr0_vgpr1
	v_trig_preop_f64 v[46:47], |v[32:33]|, 0
	v_trig_preop_f64 v[40:41], |v[32:33]|, 1
	;; [unrolled: 1-line block ×3, first 2 shown]
	v_cmp_nlt_f64_e64 s[8:9], |v[32:33]|, s[54:55]
	v_ldexp_f64 v[30:31], |v[32:33]|, s33
	v_and_b32_e32 v2, 0x7fffffff, v33
	s_and_saveexec_b64 s[2:3], s[8:9]
	s_xor_b64 s[68:69], exec, s[2:3]
	s_cbranch_execz .LBB1_119
; %bb.118:                              ;   in Loop: Header=BB1_93 Depth=3
	v_cmp_ge_f64_e64 vcc, |v[32:33]|, s[56:57]
	v_mov_b32_e32 v0, v61
	v_mov_b32_e32 v1, v62
	s_mov_b32 s58, s60
	s_mov_b32 s73, s53
	v_cndmask_b32_e32 v25, v2, v31, vcc
	v_cndmask_b32_e32 v24, v32, v30, vcc
	v_mul_f64 v[26:27], v[46:47], v[24:25]
	v_mul_f64 v[12:13], v[40:41], v[24:25]
	;; [unrolled: 1-line block ×3, first 2 shown]
	v_fma_f64 v[36:37], v[46:47], v[24:25], -v[26:27]
	v_add_f64 v[52:53], v[12:13], v[36:37]
	v_add_f64 v[57:58], v[52:53], -v[12:13]
	v_add_f64 v[55:56], v[26:27], v[52:53]
	v_add_f64 v[36:37], v[36:37], -v[57:58]
	v_add_f64 v[57:58], v[52:53], -v[57:58]
	v_ldexp_f64 v[16:17], v[55:56], -2
	v_add_f64 v[57:58], v[12:13], -v[57:58]
	v_fract_f64_e32 v[48:49], v[16:17]
	v_cmp_neq_f64_e64 vcc, |v[16:17]|, s[74:75]
	v_add_f64 v[36:37], v[36:37], v[57:58]
	v_fma_f64 v[57:58], v[40:41], v[24:25], -v[12:13]
	v_add_f64 v[12:13], v[55:56], -v[26:27]
	v_fma_f64 v[24:25], v[38:39], v[24:25], -v[59:60]
	v_add_f64 v[61:62], v[59:60], v[57:58]
	v_add_f64 v[26:27], v[52:53], -v[12:13]
	v_add_f64 v[28:29], v[61:62], v[36:37]
	v_add_f64 v[12:13], v[26:27], v[28:29]
	v_add_f64 v[52:53], v[28:29], -v[61:62]
	v_add_f64 v[26:27], v[12:13], -v[26:27]
	;; [unrolled: 1-line block ×6, first 2 shown]
	v_add_f64 v[28:29], v[36:37], v[28:29]
	v_add_f64 v[36:37], v[61:62], -v[59:60]
	v_add_f64 v[52:53], v[57:58], -v[36:37]
	;; [unrolled: 1-line block ×3, first 2 shown]
	v_mov_b32_e32 v62, v1
	v_mov_b32_e32 v61, v0
	v_add_f64 v[36:37], v[59:60], -v[36:37]
	buffer_load_dword v59, off, s[96:99], 0 offset:88 ; 4-byte Folded Reload
	buffer_load_dword v60, off, s[96:99], 0 offset:92 ; 4-byte Folded Reload
	buffer_load_dword v0, off, s[96:99], 0  ; 4-byte Folded Reload
	buffer_load_dword v1, off, s[96:99], 0 offset:4 ; 4-byte Folded Reload
	v_add_f64 v[36:37], v[52:53], v[36:37]
	v_add_f64 v[28:29], v[36:37], v[28:29]
	v_add_f64 v[24:25], v[24:25], v[28:29]
	v_add_f64 v[36:37], v[26:27], v[24:25]
	v_ldexp_f64 v[24:25], v[48:49], 2
	v_cndmask_b32_e32 v17, 0, v25, vcc
	v_cndmask_b32_e32 v16, 0, v24, vcc
	v_add_f64 v[24:25], v[12:13], v[16:17]
	v_cmp_gt_f64_e32 vcc, 0, v[24:25]
	s_waitcnt vmcnt(1)
	v_mov_b32_e32 v26, v0
	v_mov_b32_e32 v0, 0x40100000
	v_cndmask_b32_e32 v27, 0, v0, vcc
	v_add_f64 v[16:17], v[16:17], v[26:27]
	v_add_f64 v[24:25], v[12:13], v[16:17]
	v_cvt_i32_f64_e32 v0, v[24:25]
	v_cvt_f64_i32_e32 v[24:25], v0
	v_add_f64 v[16:17], v[16:17], -v[24:25]
	v_add_f64 v[24:25], v[12:13], v[16:17]
	v_add_f64 v[16:17], v[24:25], -v[16:17]
	v_cmp_le_f64_e32 vcc, 0.5, v[24:25]
	v_add_f64 v[12:13], v[12:13], -v[16:17]
	v_addc_co_u32_e64 v0, s[2:3], 0, v0, vcc
	buffer_store_dword v0, off, s[96:99], 0 offset:216 ; 4-byte Folded Spill
	v_mov_b32_e32 v0, 0x3ff00000
	v_cndmask_b32_e32 v27, 0, v0, vcc
	v_add_f64 v[16:17], v[24:25], -v[26:27]
	v_mov_b32_e32 v0, v26
	v_add_f64 v[12:13], v[36:37], v[12:13]
	buffer_store_dword v0, off, s[96:99], 0 ; 4-byte Folded Spill
	s_waitcnt vmcnt(2)
	buffer_store_dword v1, off, s[96:99], 0 offset:4 ; 4-byte Folded Spill
	v_add_f64 v[24:25], v[16:17], v[12:13]
	v_add_f64 v[16:17], v[24:25], -v[16:17]
	v_add_f64 v[12:13], v[12:13], -v[16:17]
	v_mul_f64 v[16:17], v[24:25], s[58:59]
	v_fma_f64 v[26:27], v[24:25], s[58:59], -v[16:17]
	v_fma_f64 v[24:25], v[24:25], s[72:73], v[26:27]
	v_fma_f64 v[24:25], v[12:13], s[58:59], v[24:25]
	v_add_f64 v[0:1], v[16:17], v[24:25]
	buffer_store_dword v0, off, s[96:99], 0 offset:224 ; 4-byte Folded Spill
	s_nop 0
	buffer_store_dword v1, off, s[96:99], 0 offset:228 ; 4-byte Folded Spill
	v_add_f64 v[16:17], v[0:1], -v[16:17]
	v_add_f64 v[0:1], v[24:25], -v[16:17]
	buffer_store_dword v0, off, s[96:99], 0 offset:232 ; 4-byte Folded Spill
	s_nop 0
	buffer_store_dword v1, off, s[96:99], 0 offset:236 ; 4-byte Folded Spill
	s_andn2_saveexec_b64 s[2:3], s[68:69]
	s_cbranch_execz .LBB1_121
	s_branch .LBB1_120
.LBB1_119:                              ;   in Loop: Header=BB1_93 Depth=3
	s_andn2_saveexec_b64 s[2:3], s[68:69]
	s_cbranch_execz .LBB1_121
.LBB1_120:                              ;   in Loop: Header=BB1_93 Depth=3
	v_mul_f64 v[12:13], |v[32:33]|, s[62:63]
	s_mov_b32 s52, s64
	v_rndne_f64_e32 v[16:17], v[12:13]
	v_fma_f64 v[12:13], v[16:17], s[60:61], |v[32:33]|
	v_mul_f64 v[24:25], v[16:17], s[64:65]
	v_fma_f64 v[48:49], v[16:17], s[64:65], v[12:13]
	v_add_f64 v[26:27], v[12:13], v[24:25]
	v_add_f64 v[36:37], v[12:13], -v[26:27]
	v_add_f64 v[26:27], v[26:27], -v[48:49]
	v_add_f64 v[12:13], v[36:37], v[24:25]
	v_fma_f64 v[24:25], v[16:17], s[52:53], v[24:25]
	v_add_f64 v[12:13], v[26:27], v[12:13]
	v_add_f64 v[12:13], v[12:13], -v[24:25]
	v_fma_f64 v[24:25], v[16:17], s[18:19], v[12:13]
	v_add_f64 v[0:1], v[48:49], v[24:25]
	buffer_store_dword v0, off, s[96:99], 0 offset:224 ; 4-byte Folded Spill
	s_nop 0
	buffer_store_dword v1, off, s[96:99], 0 offset:228 ; 4-byte Folded Spill
	v_add_f64 v[26:27], v[0:1], -v[48:49]
	v_add_f64 v[0:1], v[24:25], -v[26:27]
	buffer_store_dword v0, off, s[96:99], 0 offset:232 ; 4-byte Folded Spill
	s_nop 0
	buffer_store_dword v1, off, s[96:99], 0 offset:236 ; 4-byte Folded Spill
	v_cvt_i32_f64_e32 v0, v[16:17]
	buffer_store_dword v0, off, s[96:99], 0 offset:216 ; 4-byte Folded Spill
.LBB1_121:                              ;   in Loop: Header=BB1_93 Depth=3
	s_or_b64 exec, exec, s[2:3]
                                        ; implicit-def: $vgpr55
                                        ; implicit-def: $vgpr16_vgpr17
                                        ; implicit-def: $vgpr36_vgpr37
	s_and_saveexec_b64 s[2:3], s[8:9]
	s_xor_b64 s[8:9], exec, s[2:3]
	s_cbranch_execz .LBB1_123
; %bb.122:                              ;   in Loop: Header=BB1_93 Depth=3
	v_cmp_ge_f64_e64 vcc, |v[32:33]|, s[56:57]
	s_mov_b32 s58, s60
	s_mov_b32 s73, s53
	v_cndmask_b32_e32 v25, v2, v31, vcc
	v_cndmask_b32_e32 v24, v32, v30, vcc
	v_mul_f64 v[26:27], v[46:47], v[24:25]
	v_mul_f64 v[16:17], v[40:41], v[24:25]
	v_fma_f64 v[28:29], v[46:47], v[24:25], -v[26:27]
	v_fma_f64 v[40:41], v[40:41], v[24:25], -v[16:17]
	v_add_f64 v[36:37], v[16:17], v[28:29]
	v_add_f64 v[55:56], v[36:37], -v[16:17]
	v_add_f64 v[52:53], v[26:27], v[36:37]
	v_add_f64 v[28:29], v[28:29], -v[55:56]
	v_add_f64 v[55:56], v[36:37], -v[55:56]
	v_ldexp_f64 v[30:31], v[52:53], -2
	v_add_f64 v[55:56], v[16:17], -v[55:56]
	v_add_f64 v[16:17], v[52:53], -v[26:27]
	v_fract_f64_e32 v[46:47], v[30:31]
	v_cmp_neq_f64_e64 vcc, |v[30:31]|, s[74:75]
	v_add_f64 v[28:29], v[28:29], v[55:56]
	v_mul_f64 v[55:56], v[38:39], v[24:25]
	v_add_f64 v[26:27], v[36:37], -v[16:17]
	v_add_f64 v[57:58], v[55:56], v[40:41]
	v_fma_f64 v[24:25], v[38:39], v[24:25], -v[55:56]
	v_add_f64 v[59:60], v[57:58], v[28:29]
	v_add_f64 v[36:37], v[59:60], -v[57:58]
	v_add_f64 v[16:17], v[26:27], v[59:60]
	v_add_f64 v[28:29], v[28:29], -v[36:37]
	v_add_f64 v[36:37], v[59:60], -v[36:37]
	;; [unrolled: 1-line block ×5, first 2 shown]
	buffer_load_dword v59, off, s[96:99], 0 offset:88 ; 4-byte Folded Reload
	buffer_load_dword v60, off, s[96:99], 0 offset:92 ; 4-byte Folded Reload
	buffer_load_dword v0, off, s[96:99], 0  ; 4-byte Folded Reload
	buffer_load_dword v1, off, s[96:99], 0 offset:4 ; 4-byte Folded Reload
	v_add_f64 v[28:29], v[28:29], v[36:37]
	v_add_f64 v[36:37], v[57:58], -v[55:56]
	v_add_f64 v[40:41], v[40:41], -v[36:37]
	;; [unrolled: 1-line block ×4, first 2 shown]
	v_add_f64 v[36:37], v[40:41], v[36:37]
	v_add_f64 v[28:29], v[36:37], v[28:29]
	;; [unrolled: 1-line block ×4, first 2 shown]
	v_ldexp_f64 v[24:25], v[46:47], 2
	v_cndmask_b32_e32 v25, 0, v25, vcc
	v_cndmask_b32_e32 v24, 0, v24, vcc
	v_add_f64 v[26:27], v[16:17], v[24:25]
	v_cmp_gt_f64_e32 vcc, 0, v[26:27]
	s_waitcnt vmcnt(0)
	v_mov_b32_e32 v1, v0
	v_mov_b32_e32 v0, 0x40100000
	v_cndmask_b32_e32 v2, 0, v0, vcc
	v_add_f64 v[24:25], v[24:25], v[1:2]
	v_add_f64 v[26:27], v[16:17], v[24:25]
	v_cvt_i32_f64_e32 v0, v[26:27]
	v_cvt_f64_i32_e32 v[26:27], v0
	v_add_f64 v[24:25], v[24:25], -v[26:27]
	v_add_f64 v[26:27], v[16:17], v[24:25]
	v_cmp_le_f64_e32 vcc, 0.5, v[26:27]
	v_add_f64 v[24:25], v[26:27], -v[24:25]
	v_addc_co_u32_e64 v55, s[2:3], 0, v0, vcc
	v_mov_b32_e32 v0, 0x3ff00000
	v_cndmask_b32_e32 v2, 0, v0, vcc
	v_mov_b32_e32 v0, v1
	buffer_store_dword v0, off, s[96:99], 0 ; 4-byte Folded Spill
	s_nop 0
	buffer_store_dword v1, off, s[96:99], 0 offset:4 ; 4-byte Folded Spill
	v_add_f64 v[16:17], v[16:17], -v[24:25]
	v_add_f64 v[16:17], v[36:37], v[16:17]
	v_add_f64 v[24:25], v[26:27], -v[1:2]
	v_add_f64 v[26:27], v[24:25], v[16:17]
	v_add_f64 v[24:25], v[26:27], -v[24:25]
	v_add_f64 v[16:17], v[16:17], -v[24:25]
	v_mul_f64 v[24:25], v[26:27], s[58:59]
	v_fma_f64 v[28:29], v[26:27], s[58:59], -v[24:25]
	v_fma_f64 v[26:27], v[26:27], s[72:73], v[28:29]
	v_fma_f64 v[26:27], v[16:17], s[58:59], v[26:27]
	v_add_f64 v[16:17], v[24:25], v[26:27]
	v_add_f64 v[24:25], v[16:17], -v[24:25]
	v_add_f64 v[36:37], v[26:27], -v[24:25]
	s_andn2_saveexec_b64 s[2:3], s[8:9]
	s_cbranch_execnz .LBB1_124
	s_branch .LBB1_125
.LBB1_123:                              ;   in Loop: Header=BB1_93 Depth=3
	s_andn2_saveexec_b64 s[2:3], s[8:9]
	s_cbranch_execz .LBB1_125
.LBB1_124:                              ;   in Loop: Header=BB1_93 Depth=3
	v_mul_f64 v[16:17], |v[32:33]|, s[62:63]
	s_mov_b32 s52, s64
	v_rndne_f64_e32 v[24:25], v[16:17]
	v_fma_f64 v[16:17], v[24:25], s[60:61], |v[32:33]|
	v_mul_f64 v[26:27], v[24:25], s[64:65]
	v_cvt_i32_f64_e32 v55, v[24:25]
	v_fma_f64 v[36:37], v[24:25], s[64:65], v[16:17]
	v_add_f64 v[28:29], v[16:17], v[26:27]
	v_add_f64 v[30:31], v[16:17], -v[28:29]
	v_add_f64 v[28:29], v[28:29], -v[36:37]
	v_add_f64 v[16:17], v[30:31], v[26:27]
	v_fma_f64 v[26:27], v[24:25], s[52:53], v[26:27]
	v_add_f64 v[16:17], v[28:29], v[16:17]
	v_add_f64 v[16:17], v[16:17], -v[26:27]
	v_fma_f64 v[26:27], v[24:25], s[18:19], v[16:17]
	v_add_f64 v[16:17], v[36:37], v[26:27]
	v_add_f64 v[28:29], v[16:17], -v[36:37]
	v_add_f64 v[36:37], v[26:27], -v[28:29]
.LBB1_125:                              ;   in Loop: Header=BB1_93 Depth=3
	s_or_b64 exec, exec, s[2:3]
	buffer_load_dword v0, off, s[96:99], 0 offset:32 ; 4-byte Folded Reload
	buffer_load_dword v1, off, s[96:99], 0 offset:36 ; 4-byte Folded Reload
	;; [unrolled: 1-line block ×4, first 2 shown]
	s_mov_b32 s2, 0x84bda12f
	s_mov_b32 s3, 0xbfca12f6
	;; [unrolled: 1-line block ×4, first 2 shown]
	v_add_f64 v[14:15], v[4:5], v[4:5]
	s_mov_b32 s14, s76
	s_mov_b32 s44, s30
	v_lshlrev_b32_e32 v2, 30, v54
	v_xor_b32_e32 v2, v2, v3
	v_and_b32_e32 v2, 0x80000000, v2
	s_mov_b32 s66, s70
	s_mov_b32 s80, 0x84bda12f
	s_mov_b32 s82, 0
	s_mov_b32 s81, 0xbfca12f6
	s_mov_b32 s83, 0x40040000
	s_waitcnt vmcnt(0)
	v_fma_f64 v[24:25], v[12:13], s[2:3], v[0:1]
	buffer_load_dword v0, off, s[96:99], 0 offset:24 ; 4-byte Folded Reload
	buffer_load_dword v1, off, s[96:99], 0 offset:28 ; 4-byte Folded Reload
	s_waitcnt vmcnt(0)
	v_fma_f64 v[26:27], v[59:60], s[84:85], v[0:1]
	buffer_load_dword v0, off, s[96:99], 0 offset:40 ; 4-byte Folded Reload
	buffer_load_dword v1, off, s[96:99], 0 offset:44 ; 4-byte Folded Reload
	buffer_load_dword v12, off, s[96:99], 0 offset:64 ; 4-byte Folded Reload
	buffer_load_dword v13, off, s[96:99], 0 offset:68 ; 4-byte Folded Reload
	v_fma_f64 v[26:27], v[34:35], s[16:17], v[26:27]
	s_waitcnt vmcnt(0)
	v_fma_f64 v[28:29], v[12:13], s[92:93], v[0:1]
	buffer_load_dword v0, off, s[96:99], 0 offset:48 ; 4-byte Folded Reload
	buffer_load_dword v1, off, s[96:99], 0 offset:52 ; 4-byte Folded Reload
	buffer_load_dword v12, off, s[96:99], 0 offset:16 ; 4-byte Folded Reload
	buffer_load_dword v13, off, s[96:99], 0 offset:20 ; 4-byte Folded Reload
	s_waitcnt vmcnt(0)
	v_fma_f64 v[30:31], v[12:13], s[2:3], v[0:1]
	buffer_load_dword v0, off, s[96:99], 0 offset:120 ; 4-byte Folded Reload
	buffer_load_dword v1, off, s[96:99], 0 offset:124 ; 4-byte Folded Reload
	s_mov_b32 s2, 0
	s_mov_b32 s3, 0x40040000
	s_waitcnt vmcnt(0)
	v_fma_f64 v[40:41], v[0:1], s[2:3], v[24:25]
	buffer_load_dword v0, off, s[96:99], 0 offset:136 ; 4-byte Folded Reload
	buffer_load_dword v1, off, s[96:99], 0 offset:140 ; 4-byte Folded Reload
	s_waitcnt vmcnt(0)
	v_fma_f64 v[28:29], v[0:1], s[94:95], v[28:29]
	buffer_load_dword v0, off, s[96:99], 0 offset:128 ; 4-byte Folded Reload
	buffer_load_dword v1, off, s[96:99], 0 offset:132 ; 4-byte Folded Reload
	;; [unrolled: 4-line block ×3, first 2 shown]
	buffer_load_dword v12, off, s[96:99], 0 offset:56 ; 4-byte Folded Reload
	buffer_load_dword v13, off, s[96:99], 0 offset:60 ; 4-byte Folded Reload
	s_waitcnt vmcnt(2)
	v_mul_f64 v[6:7], v[6:7], v[0:1]
	v_mul_f64 v[0:1], v[4:5], v[4:5]
	v_add_f64 v[4:5], v[4:5], -1.0
	v_div_scale_f64 v[24:25], s[2:3], v[6:7], v[6:7], 1.0
	s_mov_b32 s2, 0xb42fdfa7
	s_mov_b32 s3, 0xbe5ae600
	v_rcp_f64_e32 v[34:35], v[24:25]
	v_fma_f64 v[38:39], -v[24:25], v[34:35], 1.0
	v_fma_f64 v[34:35], v[34:35], v[38:39], v[34:35]
	v_fma_f64 v[38:39], -v[24:25], v[34:35], 1.0
	v_fma_f64 v[34:35], v[34:35], v[38:39], v[34:35]
	v_div_scale_f64 v[38:39], vcc, 1.0, v[6:7], 1.0
	v_mul_f64 v[46:47], v[38:39], v[34:35]
	v_fma_f64 v[24:25], -v[24:25], v[46:47], v[38:39]
	s_nop 1
	v_div_fmas_f64 v[24:25], v[24:25], v[34:35], v[46:47]
	v_add_f64 v[34:35], v[8:9], v[8:9]
	v_mul_f64 v[8:9], v[8:9], v[34:35]
	v_div_fixup_f64 v[38:39], v[24:25], v[6:7], 1.0
	s_waitcnt vmcnt(0)
	v_add_f64 v[6:7], v[12:13], v[0:1]
	buffer_load_dword v0, off, s[96:99], 0 offset:144 ; 4-byte Folded Reload
	buffer_load_dword v1, off, s[96:99], 0 offset:148 ; 4-byte Folded Reload
	v_mov_b32_e32 v24, 0x7ff80000
	v_mul_f64 v[6:7], v[14:15], v[6:7]
	buffer_store_dword v6, off, s[96:99], 0 offset:248 ; 4-byte Folded Spill
	s_nop 0
	buffer_store_dword v7, off, s[96:99], 0 offset:252 ; 4-byte Folded Spill
	s_waitcnt vmcnt(2)
	v_fma_f64 v[6:7], -v[0:1], v[4:5], v[6:7]
	buffer_load_dword v0, off, s[96:99], 0 offset:80 ; 4-byte Folded Reload
	buffer_load_dword v1, off, s[96:99], 0 offset:84 ; 4-byte Folded Reload
	v_mul_f64 v[4:5], v[4:5], v[8:9]
	v_mul_f64 v[4:5], v[4:5], v[44:45]
	v_mul_f64 v[44:45], v[20:21], 0.5
	s_waitcnt vmcnt(0)
	v_add_f64 v[6:7], v[6:7], -v[0:1]
	buffer_load_dword v0, off, s[96:99], 0 offset:96 ; 4-byte Folded Reload
	buffer_load_dword v1, off, s[96:99], 0 offset:100 ; 4-byte Folded Reload
	v_fma_f64 v[4:5], v[6:7], v[38:39], -v[4:5]
	s_waitcnt vmcnt(0)
	v_fma_f64 v[8:9], v[0:1], s[70:71], v[40:41]
	buffer_load_dword v0, off, s[96:99], 0 offset:104 ; 4-byte Folded Reload
	buffer_load_dword v1, off, s[96:99], 0 offset:108 ; 4-byte Folded Reload
	s_waitcnt vmcnt(0)
	v_fma_f64 v[34:35], v[0:1], s[86:87], v[26:27]
	v_mul_f64 v[0:1], v[18:19], -v[4:5]
	buffer_store_dword v0, off, s[96:99], 0 offset:192 ; 4-byte Folded Spill
	s_nop 0
	buffer_store_dword v1, off, s[96:99], 0 offset:196 ; 4-byte Folded Spill
	v_mul_f64 v[26:27], v[22:23], v[22:23]
	v_mul_f64 v[6:7], v[22:23], -v[26:27]
	v_mul_f64 v[56:57], v[26:27], v[26:27]
	v_fma_f64 v[4:5], v[0:1], s[14:15], v[28:29]
	buffer_load_dword v0, off, s[96:99], 0 offset:112 ; 4-byte Folded Reload
	buffer_load_dword v1, off, s[96:99], 0 offset:116 ; 4-byte Folded Reload
	s_waitcnt vmcnt(0)
	v_fma_f64 v[40:41], v[0:1], s[70:71], v[30:31]
	v_mov_b32_e32 v31, s3
	v_mov_b32_e32 v30, s2
	v_fma_f64 v[28:29], v[26:27], s[36:37], v[30:31]
	s_mov_b32 s2, 0x9037ab78
	s_mov_b32 s3, 0x3e21eeb6
	v_mov_b32_e32 v47, s3
	v_mov_b32_e32 v46, s2
	v_fma_f64 v[58:59], v[26:27], s[22:23], v[46:47]
	v_and_b32_e32 v0, 1, v54
	v_cmp_eq_u32_e32 vcc, 0, v0
	v_fma_f64 v[28:29], v[26:27], v[28:29], s[38:39]
	v_fma_f64 v[58:59], v[26:27], v[58:59], s[24:25]
	;; [unrolled: 1-line block ×7, first 2 shown]
	v_fma_f64 v[28:29], v[26:27], v[28:29], -v[20:21]
	v_fma_f64 v[6:7], v[6:7], s[44:45], v[28:29]
	v_mul_f64 v[28:29], v[26:27], 0.5
	v_fma_f64 v[26:27], v[26:27], v[58:59], s[30:31]
	v_add_f64 v[6:7], v[22:23], -v[6:7]
	v_add_f64 v[44:45], -v[28:29], 1.0
	v_add_f64 v[58:59], -v[44:45], 1.0
	v_add_f64 v[28:29], v[58:59], -v[28:29]
	v_fma_f64 v[20:21], v[22:23], -v[20:21], v[28:29]
	v_fma_f64 v[20:21], v[56:57], v[26:27], v[20:21]
	v_add_f64 v[20:21], v[44:45], v[20:21]
	v_cndmask_b32_e32 v1, v21, v7, vcc
	v_cndmask_b32_e32 v0, v20, v6, vcc
	v_xor_b32_e32 v1, v1, v2
	v_cndmask_b32_e64 v2, 0, v0, s[0:1]
	v_cndmask_b32_e64 v3, v24, v1, s[0:1]
	v_mul_f64 v[6:7], v[2:3], v[2:3]
	v_cmp_gt_f64_e32 vcc, s[50:51], v[2:3]
	v_mov_b32_e32 v0, 0x3c9cd2b2
	v_cndmask_b32_e32 v45, v7, v0, vcc
	v_mov_b32_e32 v0, 0x97d889bc
	v_cndmask_b32_e32 v44, v6, v0, vcc
	buffer_load_dword v0, off, s[96:99], 0 offset:168 ; 4-byte Folded Reload
	buffer_load_dword v1, off, s[96:99], 0 offset:172 ; 4-byte Folded Reload
	s_waitcnt vmcnt(0)
	v_fma_f64 v[6:7], v[0:1], -2.0, v[61:62]
	v_mov_b32_e32 v0, 0x3e45798e
	v_cndmask_b32_e32 v3, v3, v0, vcc
	v_mov_b32_e32 v0, 0xe2308c3a
	v_cndmask_b32_e32 v2, v2, v0, vcc
	v_mul_f64 v[2:3], -v[2:3], v[10:11]
	v_mul_f64 v[10:11], v[44:45], v[44:45]
	v_add_f64 v[52:53], v[12:13], v[6:7]
	buffer_load_dword v6, off, s[96:99], 0 offset:176 ; 4-byte Folded Reload
	buffer_load_dword v7, off, s[96:99], 0 offset:180 ; 4-byte Folded Reload
	;; [unrolled: 1-line block ×4, first 2 shown]
	v_mul_f64 v[20:21], v[52:53], -v[4:5]
	s_waitcnt vmcnt(2)
	v_mul_f64 v[20:21], v[20:21], v[6:7]
	s_waitcnt vmcnt(0)
	v_div_scale_f64 v[22:23], s[0:1], v[10:11], v[10:11], v[0:1]
	v_cmp_class_f64_e64 s[0:1], v[32:33], s6
	v_rcp_f64_e32 v[26:27], v[22:23]
	v_fma_f64 v[28:29], -v[22:23], v[26:27], 1.0
	v_fma_f64 v[26:27], v[26:27], v[28:29], v[26:27]
	v_fma_f64 v[28:29], -v[22:23], v[26:27], 1.0
	v_fma_f64 v[26:27], v[26:27], v[28:29], v[26:27]
	v_div_scale_f64 v[28:29], vcc, v[0:1], v[10:11], v[0:1]
	v_mul_f64 v[56:57], v[28:29], v[26:27]
	v_fma_f64 v[22:23], -v[22:23], v[56:57], v[28:29]
	s_nop 1
	v_div_fmas_f64 v[22:23], v[22:23], v[26:27], v[56:57]
	v_mul_f64 v[26:27], v[16:17], v[16:17]
	v_div_fixup_f64 v[10:11], v[22:23], v[10:11], v[0:1]
	v_mul_f64 v[0:1], v[18:19], v[20:21]
	buffer_store_dword v0, off, s[96:99], 0 offset:184 ; 4-byte Folded Spill
	s_nop 0
	buffer_store_dword v1, off, s[96:99], 0 offset:188 ; 4-byte Folded Spill
	v_add_f64 v[10:11], v[10:11], -v[12:13]
	v_mul_f64 v[2:3], v[10:11], v[2:3]
	v_mul_f64 v[10:11], v[2:3], v[6:7]
	v_lshlrev_b32_e32 v6, 30, v55
	v_and_b32_e32 v6, 0x80000000, v6
	v_fma_f64 v[22:23], v[0:1], s[66:67], v[8:9]
	buffer_load_dword v0, off, s[96:99], 0 offset:152 ; 4-byte Folded Reload
	buffer_load_dword v1, off, s[96:99], 0 offset:156 ; 4-byte Folded Reload
	s_waitcnt vmcnt(0)
	v_fma_f64 v[2:3], v[0:1], s[48:49], v[34:35]
	v_mul_f64 v[0:1], v[18:19], v[10:11]
	v_mul_f64 v[10:11], v[26:27], 0.5
	v_fma_f64 v[34:35], v[26:27], s[22:23], v[46:47]
	buffer_store_dword v0, off, s[96:99], 0 offset:200 ; 4-byte Folded Spill
	s_nop 0
	buffer_store_dword v1, off, s[96:99], 0 offset:204 ; 4-byte Folded Spill
	v_add_f64 v[20:21], -v[10:11], 1.0
	v_fma_f64 v[34:35], v[26:27], v[34:35], s[24:25]
	v_add_f64 v[28:29], -v[20:21], 1.0
	v_fma_f64 v[34:35], v[26:27], v[34:35], s[26:27]
	v_add_f64 v[10:11], v[28:29], -v[10:11]
	v_fma_f64 v[34:35], v[26:27], v[34:35], s[28:29]
	v_mul_f64 v[28:29], v[26:27], v[26:27]
	v_fma_f64 v[10:11], v[16:17], -v[36:37], v[10:11]
	v_fma_f64 v[34:35], v[26:27], v[34:35], s[30:31]
	v_fma_f64 v[10:11], v[28:29], v[34:35], v[10:11]
	v_add_f64 v[10:11], v[20:21], v[10:11]
	v_fma_f64 v[20:21], v[26:27], s[36:37], v[30:31]
	v_mul_f64 v[30:31], v[36:37], 0.5
	v_fma_f64 v[20:21], v[26:27], v[20:21], s[38:39]
	v_fma_f64 v[20:21], v[26:27], v[20:21], s[40:41]
	;; [unrolled: 1-line block ×3, first 2 shown]
	v_mul_f64 v[20:21], v[16:17], -v[26:27]
	v_fma_f64 v[28:29], v[20:21], v[28:29], v[30:31]
	v_fma_f64 v[8:9], v[0:1], s[66:67], v[40:41]
	v_and_b32_e32 v1, 1, v55
	v_cmp_eq_u32_e32 vcc, 0, v1
	v_fma_f64 v[30:31], v[26:27], v[28:29], -v[36:37]
	v_fma_f64 v[20:21], v[20:21], s[44:45], v[30:31]
	v_add_f64 v[16:17], v[16:17], -v[20:21]
	v_xor_b32_e32 v0, 0x80000000, v17
	v_cndmask_b32_e32 v0, v0, v11, vcc
	v_cndmask_b32_e32 v1, v16, v10, vcc
	v_xor_b32_e32 v0, v0, v6
	v_cndmask_b32_e64 v6, 0, v1, s[0:1]
	v_cndmask_b32_e64 v7, v24, v0, s[0:1]
	buffer_store_dword v6, off, s[96:99], 0 offset:272 ; 4-byte Folded Spill
	s_nop 0
	buffer_store_dword v7, off, s[96:99], 0 offset:276 ; 4-byte Folded Spill
	v_mul_f64 v[0:1], v[22:23], v[22:23]
	v_mul_f64 v[10:11], v[6:7], v[6:7]
	v_fma_f64 v[40:41], v[12:13], v[10:11], v[0:1]
	v_div_scale_f64 v[10:11], s[2:3], v[40:41], v[40:41], 1.0
	s_mov_b32 s2, 0
	s_mov_b32 s3, 0x3fafa000
	v_rcp_f64_e32 v[16:17], v[10:11]
	v_fma_f64 v[20:21], -v[10:11], v[16:17], 1.0
	v_fma_f64 v[16:17], v[16:17], v[20:21], v[16:17]
	v_fma_f64 v[20:21], -v[10:11], v[16:17], 1.0
	v_fma_f64 v[16:17], v[16:17], v[20:21], v[16:17]
	v_div_scale_f64 v[20:21], vcc, 1.0, v[40:41], 1.0
	v_mul_f64 v[26:27], v[20:21], v[16:17]
	v_fma_f64 v[10:11], -v[10:11], v[26:27], v[20:21]
	s_nop 1
	v_div_fmas_f64 v[10:11], v[10:11], v[16:17], v[26:27]
	v_div_fixup_f64 v[0:1], v[10:11], v[40:41], 1.0
	buffer_store_dword v0, off, s[96:99], 0 offset:296 ; 4-byte Folded Spill
	s_nop 0
	buffer_store_dword v1, off, s[96:99], 0 offset:300 ; 4-byte Folded Spill
	v_mul_f64 v[8:9], v[0:1], -v[8:9]
	v_mul_f64 v[0:1], v[18:19], v[8:9]
	buffer_store_dword v0, off, s[96:99], 0 offset:304 ; 4-byte Folded Spill
	s_nop 0
	buffer_store_dword v1, off, s[96:99], 0 offset:308 ; 4-byte Folded Spill
	v_fma_f64 v[10:11], v[0:1], s[2:3], v[2:3]
                                        ; implicit-def: $vgpr0
                                        ; kill: killed $vgpr0
                                        ; implicit-def: $vgpr0_vgpr1
                                        ; kill: killed $vgpr0_vgpr1
                                        ; implicit-def: $vgpr0_vgpr1
                                        ; kill: killed $vgpr0_vgpr1
	v_trig_preop_f64 v[46:47], |v[10:11]|, 0
	v_trig_preop_f64 v[56:57], |v[10:11]|, 1
	;; [unrolled: 1-line block ×3, first 2 shown]
	v_cmp_nlt_f64_e64 s[8:9], |v[10:11]|, s[54:55]
	v_ldexp_f64 v[30:31], |v[10:11]|, s33
	v_and_b32_e32 v36, 0x7fffffff, v11
	s_and_saveexec_b64 s[2:3], s[8:9]
	s_xor_b64 s[68:69], exec, s[2:3]
	s_cbranch_execz .LBB1_127
; %bb.126:                              ;   in Loop: Header=BB1_93 Depth=3
	v_cmp_ge_f64_e64 vcc, |v[10:11]|, s[56:57]
	s_mov_b32 s58, s60
	s_mov_b32 s73, s53
	v_cndmask_b32_e32 v17, v36, v31, vcc
	v_cndmask_b32_e32 v16, v10, v30, vcc
	v_mul_f64 v[26:27], v[46:47], v[16:17]
	v_mul_f64 v[2:3], v[56:57], v[16:17]
	;; [unrolled: 1-line block ×3, first 2 shown]
	v_fma_f64 v[28:29], v[46:47], v[16:17], -v[26:27]
	v_add_f64 v[48:49], v[2:3], v[28:29]
	v_add_f64 v[24:25], v[48:49], -v[2:3]
	v_add_f64 v[0:1], v[26:27], v[48:49]
	v_add_f64 v[28:29], v[28:29], -v[24:25]
	v_add_f64 v[24:25], v[48:49], -v[24:25]
	v_ldexp_f64 v[8:9], v[0:1], -2
	v_add_f64 v[0:1], v[0:1], -v[26:27]
	v_add_f64 v[24:25], v[2:3], -v[24:25]
	v_fract_f64_e32 v[54:55], v[8:9]
	v_add_f64 v[0:1], v[48:49], -v[0:1]
	v_cmp_neq_f64_e64 vcc, |v[8:9]|, s[74:75]
	v_add_f64 v[24:25], v[28:29], v[24:25]
	v_fma_f64 v[28:29], v[56:57], v[16:17], -v[2:3]
	v_fma_f64 v[16:17], v[58:59], v[16:17], -v[42:43]
	v_add_f64 v[34:35], v[42:43], v[28:29]
	v_add_f64 v[6:7], v[34:35], v[24:25]
	;; [unrolled: 1-line block ×3, first 2 shown]
	v_add_f64 v[26:27], v[6:7], -v[34:35]
	v_add_f64 v[0:1], v[2:3], -v[0:1]
	;; [unrolled: 1-line block ×6, first 2 shown]
	v_add_f64 v[6:7], v[24:25], v[6:7]
	v_add_f64 v[24:25], v[34:35], -v[42:43]
	v_add_f64 v[26:27], v[28:29], -v[24:25]
	;; [unrolled: 1-line block ×4, first 2 shown]
	v_add_f64 v[24:25], v[26:27], v[24:25]
	v_add_f64 v[6:7], v[24:25], v[6:7]
	;; [unrolled: 1-line block ×4, first 2 shown]
	v_ldexp_f64 v[0:1], v[54:55], 2
	v_cndmask_b32_e32 v1, 0, v1, vcc
	v_cndmask_b32_e32 v0, 0, v0, vcc
	v_add_f64 v[6:7], v[2:3], v[0:1]
	v_cmp_gt_f64_e32 vcc, 0, v[6:7]
	buffer_load_dword v6, off, s[96:99], 0  ; 4-byte Folded Reload
	buffer_load_dword v7, off, s[96:99], 0 offset:4 ; 4-byte Folded Reload
	s_waitcnt vmcnt(1)
	v_mov_b32_e32 v12, v6
	v_mov_b32_e32 v6, 0x40100000
	v_cndmask_b32_e32 v13, 0, v6, vcc
	v_add_f64 v[0:1], v[0:1], v[12:13]
	s_waitcnt vmcnt(0)
	v_add_f64 v[6:7], v[2:3], v[0:1]
	v_cvt_i32_f64_e32 v8, v[6:7]
	v_cvt_f64_i32_e32 v[6:7], v8
	v_add_f64 v[0:1], v[0:1], -v[6:7]
	v_add_f64 v[6:7], v[2:3], v[0:1]
	v_add_f64 v[0:1], v[6:7], -v[0:1]
	v_cmp_le_f64_e32 vcc, 0.5, v[6:7]
	v_add_f64 v[0:1], v[2:3], -v[0:1]
	v_addc_co_u32_e64 v2, s[2:3], 0, v8, vcc
	buffer_store_dword v2, off, s[96:99], 0 offset:292 ; 4-byte Folded Spill
	v_mov_b32_e32 v2, 0x3ff00000
	v_cndmask_b32_e32 v13, 0, v2, vcc
	v_mov_b32_e32 v2, v12
	buffer_store_dword v2, off, s[96:99], 0 ; 4-byte Folded Spill
	s_nop 0
	buffer_store_dword v3, off, s[96:99], 0 offset:4 ; 4-byte Folded Spill
	v_add_f64 v[0:1], v[16:17], v[0:1]
	v_add_f64 v[2:3], v[6:7], -v[12:13]
	v_add_f64 v[6:7], v[2:3], v[0:1]
	v_add_f64 v[2:3], v[6:7], -v[2:3]
	v_add_f64 v[0:1], v[0:1], -v[2:3]
	v_mul_f64 v[2:3], v[6:7], s[58:59]
	v_fma_f64 v[8:9], v[6:7], s[58:59], -v[2:3]
	v_fma_f64 v[6:7], v[6:7], s[72:73], v[8:9]
	v_fma_f64 v[0:1], v[0:1], s[58:59], v[6:7]
	v_add_f64 v[6:7], v[2:3], v[0:1]
	buffer_store_dword v6, off, s[96:99], 0 offset:256 ; 4-byte Folded Spill
	s_nop 0
	buffer_store_dword v7, off, s[96:99], 0 offset:260 ; 4-byte Folded Spill
	v_add_f64 v[2:3], v[6:7], -v[2:3]
	v_add_f64 v[0:1], v[0:1], -v[2:3]
	buffer_store_dword v0, off, s[96:99], 0 offset:264 ; 4-byte Folded Spill
	s_nop 0
	buffer_store_dword v1, off, s[96:99], 0 offset:268 ; 4-byte Folded Spill
	s_andn2_saveexec_b64 s[2:3], s[68:69]
	s_cbranch_execz .LBB1_129
	s_branch .LBB1_128
.LBB1_127:                              ;   in Loop: Header=BB1_93 Depth=3
	s_andn2_saveexec_b64 s[2:3], s[68:69]
	s_cbranch_execz .LBB1_129
.LBB1_128:                              ;   in Loop: Header=BB1_93 Depth=3
	v_mul_f64 v[2:3], |v[10:11]|, s[62:63]
	s_mov_b32 s52, s64
	v_rndne_f64_e32 v[2:3], v[2:3]
	v_fma_f64 v[8:9], v[2:3], s[60:61], |v[10:11]|
	v_mul_f64 v[16:17], v[2:3], s[64:65]
	v_fma_f64 v[54:55], v[2:3], s[64:65], v[8:9]
	v_add_f64 v[26:27], v[8:9], v[16:17]
	v_add_f64 v[28:29], v[8:9], -v[26:27]
	v_add_f64 v[26:27], v[26:27], -v[54:55]
	v_add_f64 v[8:9], v[28:29], v[16:17]
	v_fma_f64 v[16:17], v[2:3], s[52:53], v[16:17]
	v_add_f64 v[8:9], v[26:27], v[8:9]
	v_add_f64 v[8:9], v[8:9], -v[16:17]
	v_fma_f64 v[16:17], v[2:3], s[18:19], v[8:9]
	v_add_f64 v[0:1], v[54:55], v[16:17]
	buffer_store_dword v0, off, s[96:99], 0 offset:256 ; 4-byte Folded Spill
	s_nop 0
	buffer_store_dword v1, off, s[96:99], 0 offset:260 ; 4-byte Folded Spill
	v_add_f64 v[26:27], v[0:1], -v[54:55]
	v_add_f64 v[0:1], v[16:17], -v[26:27]
	buffer_store_dword v0, off, s[96:99], 0 offset:264 ; 4-byte Folded Spill
	s_nop 0
	buffer_store_dword v1, off, s[96:99], 0 offset:268 ; 4-byte Folded Spill
	v_cvt_i32_f64_e32 v0, v[2:3]
	buffer_store_dword v0, off, s[96:99], 0 offset:292 ; 4-byte Folded Spill
.LBB1_129:                              ;   in Loop: Header=BB1_93 Depth=3
	s_or_b64 exec, exec, s[2:3]
                                        ; implicit-def: $vgpr0
                                        ; kill: killed $vgpr0
                                        ; implicit-def: $vgpr0_vgpr1
                                        ; kill: killed $vgpr0_vgpr1
                                        ; implicit-def: $vgpr0_vgpr1
                                        ; kill: killed $vgpr0_vgpr1
	s_and_saveexec_b64 s[2:3], s[8:9]
	s_xor_b64 s[8:9], exec, s[2:3]
	s_cbranch_execz .LBB1_131
; %bb.130:                              ;   in Loop: Header=BB1_93 Depth=3
	v_cmp_ge_f64_e64 vcc, |v[10:11]|, s[56:57]
	s_mov_b32 s58, s60
	s_mov_b32 s73, s53
	v_cndmask_b32_e32 v1, v36, v31, vcc
	v_cndmask_b32_e32 v0, v10, v30, vcc
	v_mul_f64 v[6:7], v[46:47], v[0:1]
	v_mul_f64 v[2:3], v[56:57], v[0:1]
	v_mul_f64 v[36:37], v[58:59], v[0:1]
	v_fma_f64 v[24:25], v[46:47], v[0:1], -v[6:7]
	v_add_f64 v[26:27], v[2:3], v[24:25]
	v_add_f64 v[34:35], v[26:27], -v[2:3]
	v_add_f64 v[28:29], v[6:7], v[26:27]
	v_add_f64 v[24:25], v[24:25], -v[34:35]
	v_add_f64 v[34:35], v[26:27], -v[34:35]
	v_ldexp_f64 v[30:31], v[28:29], -2
	v_add_f64 v[34:35], v[2:3], -v[34:35]
	v_fract_f64_e32 v[54:55], v[30:31]
	v_cmp_neq_f64_e64 vcc, |v[30:31]|, s[74:75]
	v_add_f64 v[24:25], v[24:25], v[34:35]
	v_fma_f64 v[34:35], v[56:57], v[0:1], -v[2:3]
	v_add_f64 v[2:3], v[28:29], -v[6:7]
	v_fma_f64 v[0:1], v[58:59], v[0:1], -v[36:37]
	v_add_f64 v[42:43], v[36:37], v[34:35]
	v_add_f64 v[6:7], v[26:27], -v[2:3]
	v_add_f64 v[46:47], v[42:43], v[24:25]
	v_add_f64 v[26:27], v[46:47], -v[42:43]
	;; [unrolled: 2-line block ×3, first 2 shown]
	v_add_f64 v[26:27], v[46:47], -v[26:27]
	v_add_f64 v[6:7], v[2:3], -v[6:7]
	;; [unrolled: 1-line block ×4, first 2 shown]
	v_add_f64 v[24:25], v[24:25], v[26:27]
	v_add_f64 v[26:27], v[42:43], -v[36:37]
	v_add_f64 v[28:29], v[34:35], -v[26:27]
	;; [unrolled: 1-line block ×4, first 2 shown]
	v_add_f64 v[26:27], v[28:29], v[26:27]
	v_add_f64 v[24:25], v[26:27], v[24:25]
	;; [unrolled: 1-line block ×4, first 2 shown]
	v_ldexp_f64 v[0:1], v[54:55], 2
	v_cndmask_b32_e32 v1, 0, v1, vcc
	v_cndmask_b32_e32 v0, 0, v0, vcc
	v_add_f64 v[6:7], v[2:3], v[0:1]
	v_cmp_gt_f64_e32 vcc, 0, v[6:7]
	buffer_load_dword v6, off, s[96:99], 0  ; 4-byte Folded Reload
	buffer_load_dword v7, off, s[96:99], 0 offset:4 ; 4-byte Folded Reload
	s_waitcnt vmcnt(1)
	v_mov_b32_e32 v16, v6
	v_mov_b32_e32 v6, 0x40100000
	v_cndmask_b32_e32 v17, 0, v6, vcc
	v_add_f64 v[0:1], v[0:1], v[16:17]
	s_waitcnt vmcnt(0)
	v_add_f64 v[6:7], v[2:3], v[0:1]
	v_cvt_i32_f64_e32 v12, v[6:7]
	v_cvt_f64_i32_e32 v[6:7], v12
	v_add_f64 v[0:1], v[0:1], -v[6:7]
	v_add_f64 v[6:7], v[2:3], v[0:1]
	v_add_f64 v[0:1], v[6:7], -v[0:1]
	v_cmp_le_f64_e32 vcc, 0.5, v[6:7]
	v_add_f64 v[0:1], v[2:3], -v[0:1]
	v_addc_co_u32_e64 v2, s[2:3], 0, v12, vcc
	buffer_store_dword v2, off, s[96:99], 0 offset:288 ; 4-byte Folded Spill
	v_mov_b32_e32 v2, 0x3ff00000
	v_cndmask_b32_e32 v17, 0, v2, vcc
	v_mov_b32_e32 v2, v16
	buffer_store_dword v2, off, s[96:99], 0 ; 4-byte Folded Spill
	s_nop 0
	buffer_store_dword v3, off, s[96:99], 0 offset:4 ; 4-byte Folded Spill
	v_add_f64 v[0:1], v[46:47], v[0:1]
	v_add_f64 v[2:3], v[6:7], -v[16:17]
	v_add_f64 v[6:7], v[2:3], v[0:1]
	v_add_f64 v[2:3], v[6:7], -v[2:3]
	v_mul_f64 v[24:25], v[6:7], s[58:59]
	v_add_f64 v[0:1], v[0:1], -v[2:3]
	v_fma_f64 v[2:3], v[6:7], s[58:59], -v[24:25]
	v_fma_f64 v[2:3], v[6:7], s[72:73], v[2:3]
	v_fma_f64 v[0:1], v[0:1], s[58:59], v[2:3]
	v_add_f64 v[2:3], v[24:25], v[0:1]
	buffer_store_dword v2, off, s[96:99], 0 offset:240 ; 4-byte Folded Spill
	s_nop 0
	buffer_store_dword v3, off, s[96:99], 0 offset:244 ; 4-byte Folded Spill
	v_add_f64 v[6:7], v[2:3], -v[24:25]
	v_add_f64 v[0:1], v[0:1], -v[6:7]
	buffer_store_dword v0, off, s[96:99], 0 offset:280 ; 4-byte Folded Spill
	s_nop 0
	buffer_store_dword v1, off, s[96:99], 0 offset:284 ; 4-byte Folded Spill
	s_andn2_saveexec_b64 s[2:3], s[8:9]
	s_cbranch_execnz .LBB1_132
	s_branch .LBB1_133
.LBB1_131:                              ;   in Loop: Header=BB1_93 Depth=3
	s_andn2_saveexec_b64 s[2:3], s[8:9]
	s_cbranch_execz .LBB1_133
.LBB1_132:                              ;   in Loop: Header=BB1_93 Depth=3
	v_mul_f64 v[0:1], |v[10:11]|, s[62:63]
	s_mov_b32 s52, s64
	v_rndne_f64_e32 v[0:1], v[0:1]
	v_fma_f64 v[2:3], v[0:1], s[60:61], |v[10:11]|
	v_mul_f64 v[6:7], v[0:1], s[64:65]
	v_fma_f64 v[28:29], v[0:1], s[64:65], v[2:3]
	v_add_f64 v[24:25], v[2:3], v[6:7]
	v_add_f64 v[26:27], v[2:3], -v[24:25]
	v_add_f64 v[24:25], v[24:25], -v[28:29]
	v_add_f64 v[2:3], v[26:27], v[6:7]
	v_fma_f64 v[6:7], v[0:1], s[52:53], v[6:7]
	v_add_f64 v[2:3], v[24:25], v[2:3]
	v_add_f64 v[2:3], v[2:3], -v[6:7]
	v_fma_f64 v[6:7], v[0:1], s[18:19], v[2:3]
	v_cvt_i32_f64_e32 v0, v[0:1]
	v_add_f64 v[2:3], v[28:29], v[6:7]
	buffer_store_dword v2, off, s[96:99], 0 offset:240 ; 4-byte Folded Spill
	s_nop 0
	buffer_store_dword v3, off, s[96:99], 0 offset:244 ; 4-byte Folded Spill
	v_add_f64 v[24:25], v[2:3], -v[28:29]
	v_add_f64 v[2:3], v[6:7], -v[24:25]
	buffer_store_dword v2, off, s[96:99], 0 offset:280 ; 4-byte Folded Spill
	s_nop 0
	buffer_store_dword v3, off, s[96:99], 0 offset:284 ; 4-byte Folded Spill
	buffer_store_dword v0, off, s[96:99], 0 offset:288 ; 4-byte Folded Spill
.LBB1_133:                              ;   in Loop: Header=BB1_93 Depth=3
	s_or_b64 exec, exec, s[2:3]
	buffer_load_dword v16, off, s[96:99], 0 offset:168 ; 4-byte Folded Reload
	buffer_load_dword v17, off, s[96:99], 0 offset:172 ; 4-byte Folded Reload
	;; [unrolled: 1-line block ×6, first 2 shown]
	v_mul_f64 v[42:43], s[12:13], v[14:15]
	s_mov_b32 s66, s70
	s_mov_b32 s44, s30
	;; [unrolled: 1-line block ×15, first 2 shown]
	s_waitcnt vmcnt(2)
	v_mul_f64 v[34:35], v[8:9], s[88:89]
	v_add_f64 v[0:1], v[16:17], v[16:17]
	s_waitcnt vmcnt(0)
	v_fma_f64 v[6:7], v[8:9], s[80:81], v[2:3]
	buffer_load_dword v2, off, s[96:99], 0 offset:136 ; 4-byte Folded Reload
	buffer_load_dword v3, off, s[96:99], 0 offset:140 ; 4-byte Folded Reload
	s_waitcnt vmcnt(0)
	v_fma_f64 v[6:7], v[2:3], s[82:83], v[6:7]
	buffer_load_dword v2, off, s[96:99], 0 offset:8 ; 4-byte Folded Reload
	buffer_load_dword v3, off, s[96:99], 0 offset:12 ; 4-byte Folded Reload
	s_waitcnt vmcnt(0)
	v_mul_f64 v[24:25], v[2:3], s[88:89]
	buffer_load_dword v2, off, s[96:99], 0 offset:88 ; 4-byte Folded Reload
	buffer_load_dword v3, off, s[96:99], 0 offset:92 ; 4-byte Folded Reload
	;; [unrolled: 1-line block ×4, first 2 shown]
	s_waitcnt vmcnt(2)
	v_mul_f64 v[26:27], v[2:3], s[88:89]
	s_waitcnt vmcnt(0)
	v_mul_f64 v[2:3], v[12:13], v[18:19]
	buffer_store_dword v2, off, s[96:99], 0 offset:424 ; 4-byte Folded Spill
	s_nop 0
	buffer_store_dword v3, off, s[96:99], 0 offset:428 ; 4-byte Folded Spill
	buffer_load_dword v12, off, s[96:99], 0 offset:344 ; 4-byte Folded Reload
	buffer_load_dword v13, off, s[96:99], 0 offset:348 ; 4-byte Folded Reload
	v_mul_f64 v[28:29], v[2:3], s[88:89]
	s_waitcnt vmcnt(0)
	v_mul_f64 v[2:3], v[18:19], -v[12:13]
	buffer_store_dword v2, off, s[96:99], 0 offset:416 ; 4-byte Folded Spill
	s_nop 0
	buffer_store_dword v3, off, s[96:99], 0 offset:420 ; 4-byte Folded Spill
	v_mul_f64 v[30:31], v[2:3], s[88:89]
	buffer_load_dword v2, off, s[96:99], 0 offset:16 ; 4-byte Folded Reload
	buffer_load_dword v3, off, s[96:99], 0 offset:20 ; 4-byte Folded Reload
	s_waitcnt vmcnt(0)
	v_mul_f64 v[36:37], v[2:3], s[88:89]
	buffer_load_dword v2, off, s[96:99], 0 offset:160 ; 4-byte Folded Reload
	buffer_load_dword v3, off, s[96:99], 0 offset:164 ; 4-byte Folded Reload
	;; [unrolled: 1-line block ×4, first 2 shown]
	s_waitcnt vmcnt(2)
	v_add_f64 v[46:47], v[2:3], -v[14:15]
	buffer_load_dword v2, off, s[96:99], 0 offset:208 ; 4-byte Folded Reload
	buffer_load_dword v3, off, s[96:99], 0 offset:212 ; 4-byte Folded Reload
	s_waitcnt vmcnt(2)
	v_mul_f64 v[46:47], v[20:21], v[46:47]
	s_waitcnt vmcnt(0)
	v_div_scale_f64 v[48:49], s[2:3], v[2:3], v[2:3], v[46:47]
	v_rcp_f64_e32 v[56:57], v[48:49]
	v_fma_f64 v[58:59], -v[48:49], v[56:57], 1.0
	v_fma_f64 v[56:57], v[56:57], v[58:59], v[56:57]
	v_fma_f64 v[58:59], -v[48:49], v[56:57], 1.0
	v_fma_f64 v[56:57], v[56:57], v[58:59], v[56:57]
	v_div_scale_f64 v[58:59], vcc, v[46:47], v[2:3], v[46:47]
	v_mul_f64 v[12:13], v[58:59], v[56:57]
	v_fma_f64 v[48:49], -v[48:49], v[12:13], v[58:59]
	s_nop 1
	v_div_fmas_f64 v[12:13], v[48:49], v[56:57], v[12:13]
	v_div_fixup_f64 v[12:13], v[12:13], v[2:3], v[46:47]
	buffer_load_dword v2, off, s[96:99], 0 offset:248 ; 4-byte Folded Reload
	buffer_load_dword v3, off, s[96:99], 0 offset:252 ; 4-byte Folded Reload
	v_fma_f64 v[12:13], s[12:13], v[14:15], v[12:13]
	v_mul_f64 v[12:13], v[38:39], -v[12:13]
	s_waitcnt vmcnt(0)
	v_fma_f64 v[14:15], -v[20:21], v[42:43], v[2:3]
	buffer_load_dword v2, off, s[96:99], 0 offset:96 ; 4-byte Folded Reload
	buffer_load_dword v3, off, s[96:99], 0 offset:100 ; 4-byte Folded Reload
	v_fma_f64 v[14:15], v[14:15], v[38:39], 1.0
	buffer_load_dword v38, off, s[96:99], 0 offset:104 ; 4-byte Folded Reload
	buffer_load_dword v39, off, s[96:99], 0 offset:108 ; 4-byte Folded Reload
	s_waitcnt vmcnt(2)
	v_fma_f64 v[24:25], v[2:3], s[10:11], -v[24:25]
	v_mul_f64 v[2:3], v[18:19], v[12:13]
	buffer_store_dword v2, off, s[96:99], 0 offset:248 ; 4-byte Folded Spill
	s_nop 0
	buffer_store_dword v3, off, s[96:99], 0 offset:252 ; 4-byte Folded Spill
	s_waitcnt vmcnt(2)
	v_fma_f64 v[26:27], v[38:39], s[10:11], -v[26:27]
	v_fma_f64 v[12:13], v[2:3], s[10:11], -v[28:29]
	v_mul_f64 v[2:3], v[18:19], -v[14:15]
	buffer_store_dword v2, off, s[96:99], 0 offset:432 ; 4-byte Folded Spill
	s_nop 0
	buffer_store_dword v3, off, s[96:99], 0 offset:436 ; 4-byte Folded Spill
	buffer_load_dword v54, off, s[96:99], 0 offset:192 ; 4-byte Folded Reload
	buffer_load_dword v55, off, s[96:99], 0 offset:196 ; 4-byte Folded Reload
	v_fma_f64 v[28:29], v[2:3], s[10:11], -v[30:31]
	buffer_load_dword v2, off, s[96:99], 0 offset:112 ; 4-byte Folded Reload
	buffer_load_dword v3, off, s[96:99], 0 offset:116 ; 4-byte Folded Reload
	s_waitcnt vmcnt(2)
	v_fma_f64 v[30:31], v[54:55], s[70:71], v[6:7]
	v_mul_f64 v[6:7], v[52:53], v[50:51]
	v_fma_f64 v[34:35], v[54:55], s[10:11], -v[34:35]
	v_div_scale_f64 v[14:15], s[2:3], v[6:7], v[6:7], 1.0
	v_rcp_f64_e32 v[38:39], v[14:15]
	v_fma_f64 v[42:43], -v[14:15], v[38:39], 1.0
	v_fma_f64 v[38:39], v[38:39], v[42:43], v[38:39]
	v_fma_f64 v[42:43], -v[14:15], v[38:39], 1.0
	v_fma_f64 v[38:39], v[38:39], v[42:43], v[38:39]
	v_div_scale_f64 v[42:43], vcc, 1.0, v[6:7], 1.0
	s_waitcnt vmcnt(0)
	v_fma_f64 v[36:37], v[2:3], s[10:11], -v[36:37]
	buffer_load_dword v2, off, s[96:99], 0 offset:56 ; 4-byte Folded Reload
	buffer_load_dword v3, off, s[96:99], 0 offset:60 ; 4-byte Folded Reload
	s_nop 0
	buffer_store_dword v10, off, s[96:99], 0 offset:208 ; 4-byte Folded Spill
	s_nop 0
	buffer_store_dword v11, off, s[96:99], 0 offset:212 ; 4-byte Folded Spill
	v_mul_f64 v[46:47], v[42:43], v[38:39]
	v_fma_f64 v[14:15], -v[14:15], v[46:47], v[42:43]
	v_div_fmas_f64 v[14:15], v[14:15], v[38:39], v[46:47]
	v_add_f64 v[38:39], v[50:51], -v[0:1]
	v_mul_f64 v[38:39], v[20:21], v[38:39]
	v_div_fixup_f64 v[6:7], v[14:15], v[6:7], 1.0
	v_div_scale_f64 v[42:43], s[2:3], v[44:45], v[44:45], v[38:39]
	v_mul_f64 v[14:15], s[12:13], v[0:1]
	s_mov_b32 s2, 0xb42fdfa7
	s_mov_b32 s3, 0xbe5ae600
	v_rcp_f64_e32 v[46:47], v[42:43]
	v_fma_f64 v[48:49], -v[42:43], v[46:47], 1.0
	v_fma_f64 v[46:47], v[46:47], v[48:49], v[46:47]
	v_fma_f64 v[48:49], -v[42:43], v[46:47], 1.0
	v_fma_f64 v[46:47], v[46:47], v[48:49], v[46:47]
	v_div_scale_f64 v[48:49], vcc, v[38:39], v[44:45], v[38:39]
	v_mul_f64 v[50:51], v[48:49], v[46:47]
	v_fma_f64 v[42:43], -v[42:43], v[50:51], v[48:49]
	s_nop 1
	v_div_fmas_f64 v[42:43], v[42:43], v[46:47], v[50:51]
	buffer_load_dword v50, off, s[96:99], 0 offset:144 ; 4-byte Folded Reload
	buffer_load_dword v51, off, s[96:99], 0 offset:148 ; 4-byte Folded Reload
	v_div_fixup_f64 v[38:39], v[42:43], v[44:45], v[38:39]
	s_waitcnt vmcnt(4)
	v_add_f64 v[42:43], v[2:3], v[61:62]
	v_add_f64 v[44:45], v[4:5], v[4:5]
	v_mov_b32_e32 v61, v3
	v_mov_b32_e32 v60, v2
	buffer_load_dword v2, off, s[96:99], 0 offset:80 ; 4-byte Folded Reload
	buffer_load_dword v3, off, s[96:99], 0 offset:84 ; 4-byte Folded Reload
	v_mov_b32_e32 v62, 0x97d889bc
	v_fma_f64 v[38:39], s[12:13], v[0:1], v[38:39]
	v_mul_f64 v[0:1], v[0:1], v[42:43]
	v_add_f64 v[42:43], v[16:17], -1.0
	v_mul_f64 v[4:5], v[4:5], v[44:45]
	buffer_load_dword v16, off, s[96:99], 0 offset:176 ; 4-byte Folded Reload
	buffer_load_dword v17, off, s[96:99], 0 offset:180 ; 4-byte Folded Reload
	v_mov_b32_e32 v45, s3
	v_mov_b32_e32 v44, s2
	s_mov_b32 s2, 0x9037ab78
	v_mul_f64 v[38:39], v[6:7], -v[38:39]
	v_fma_f64 v[14:15], -v[20:21], v[14:15], v[0:1]
	s_mov_b32 s3, 0x3e21eeb6
	v_mul_f64 v[4:5], v[42:43], v[4:5]
	v_fma_f64 v[14:15], v[14:15], v[6:7], 1.0
	s_waitcnt vmcnt(4)
	v_fma_f64 v[0:1], -v[50:51], v[42:43], v[0:1]
	buffer_load_dword v42, off, s[96:99], 0 offset:184 ; 4-byte Folded Reload
	buffer_load_dword v43, off, s[96:99], 0 offset:188 ; 4-byte Folded Reload
	s_waitcnt vmcnt(4)
	v_add_f64 v[0:1], v[0:1], -v[2:3]
	s_waitcnt vmcnt(2)
	v_mul_f64 v[4:5], v[4:5], v[16:17]
	v_fma_f64 v[0:1], v[0:1], v[6:7], -v[4:5]
	v_mul_f64 v[8:9], v[18:19], -v[0:1]
	s_waitcnt vmcnt(0)
	v_fma_f64 v[2:3], v[42:43], s[46:47], v[24:25]
	buffer_store_dword v2, off, s[96:99], 0 offset:160 ; 4-byte Folded Spill
	s_nop 0
	buffer_store_dword v3, off, s[96:99], 0 offset:164 ; 4-byte Folded Spill
	buffer_load_dword v4, off, s[96:99], 0 offset:152 ; 4-byte Folded Reload
	buffer_load_dword v5, off, s[96:99], 0 offset:156 ; 4-byte Folded Reload
	v_fma_f64 v[24:25], v[8:9], s[46:47], v[34:35]
	s_waitcnt vmcnt(0)
	v_fma_f64 v[6:7], v[4:5], s[46:47], v[26:27]
	v_mul_f64 v[4:5], v[18:19], v[38:39]
	buffer_store_dword v4, off, s[96:99], 0 offset:440 ; 4-byte Folded Spill
	s_nop 0
	buffer_store_dword v5, off, s[96:99], 0 offset:444 ; 4-byte Folded Spill
	v_fma_f64 v[2:3], v[4:5], s[46:47], v[12:13]
	v_mul_f64 v[4:5], v[18:19], -v[14:15]
	buffer_store_dword v2, off, s[96:99], 0 offset:176 ; 4-byte Folded Spill
	s_nop 0
	buffer_store_dword v3, off, s[96:99], 0 offset:180 ; 4-byte Folded Spill
	buffer_store_dword v4, off, s[96:99], 0 offset:448 ; 4-byte Folded Spill
	s_nop 0
	buffer_store_dword v5, off, s[96:99], 0 offset:452 ; 4-byte Folded Spill
	buffer_load_dword v16, off, s[96:99], 0 offset:200 ; 4-byte Folded Reload
	buffer_load_dword v17, off, s[96:99], 0 offset:204 ; 4-byte Folded Reload
	;; [unrolled: 1-line block ×3, first 2 shown]
	v_mul_f64 v[2:3], v[22:23], v[22:23]
	v_fma_f64 v[38:39], v[4:5], s[46:47], v[28:29]
	v_fma_f64 v[4:5], v[8:9], s[66:67], v[30:31]
	s_waitcnt vmcnt(1)
	v_fma_f64 v[27:28], v[16:17], s[46:47], v[36:37]
	s_waitcnt vmcnt(0)
	v_and_b32_e32 v0, 1, v14
	v_cmp_eq_u32_e32 vcc, 0, v0
	buffer_load_dword v0, off, s[96:99], 0 offset:224 ; 4-byte Folded Reload
	buffer_load_dword v1, off, s[96:99], 0 offset:228 ; 4-byte Folded Reload
	;; [unrolled: 1-line block ×4, first 2 shown]
	v_mov_b32_e32 v32, s3
	v_mov_b32_e32 v31, s2
	buffer_load_dword v52, off, s[96:99], 0 offset:296 ; 4-byte Folded Reload
	buffer_load_dword v53, off, s[96:99], 0 offset:300 ; 4-byte Folded Reload
	s_waitcnt vmcnt(4)
	v_mul_f64 v[12:13], v[0:1], v[0:1]
	s_waitcnt vmcnt(2)
	v_mul_f64 v[36:37], v[56:57], 0.5
	v_fma_f64 v[34:35], v[12:13], s[36:37], v[44:45]
	v_mul_f64 v[29:30], v[0:1], -v[12:13]
	v_fma_f64 v[48:49], v[12:13], s[22:23], v[31:32]
	v_mul_f64 v[46:47], v[12:13], v[12:13]
	v_fma_f64 v[34:35], v[12:13], v[34:35], s[38:39]
	v_fma_f64 v[48:49], v[12:13], v[48:49], s[24:25]
	;; [unrolled: 1-line block ×7, first 2 shown]
	v_fma_f64 v[34:35], v[12:13], v[34:35], -v[56:57]
	v_fma_f64 v[29:30], v[29:30], s[44:45], v[34:35]
	v_mul_f64 v[34:35], v[12:13], 0.5
	v_fma_f64 v[12:13], v[12:13], v[48:49], s[30:31]
	v_add_f64 v[29:30], v[0:1], -v[29:30]
	v_add_f64 v[36:37], -v[34:35], 1.0
	v_add_f64 v[48:49], -v[36:37], 1.0
	v_add_f64 v[34:35], v[48:49], -v[34:35]
	v_fma_f64 v[34:35], v[0:1], -v[56:57], v[34:35]
	v_fma_f64 v[12:13], v[46:47], v[12:13], v[34:35]
	v_add_f64 v[12:13], v[36:37], v[12:13]
	v_fma_f64 v[35:36], v[22:23], -2.0, v[2:3]
	v_mov_b32_e32 v37, 0x7ff80000
	v_cndmask_b32_e32 v0, v12, v29, vcc
	v_add_f64 v[35:36], v[60:61], v[35:36]
	v_cndmask_b32_e32 v1, v13, v30, vcc
	v_lshlrev_b32_e32 v12, 30, v14
	v_xor_b32_e32 v12, v12, v33
	v_and_b32_e32 v12, 0x80000000, v12
	v_xor_b32_e32 v1, v1, v12
	v_cndmask_b32_e64 v12, 0, v0, s[0:1]
	v_cndmask_b32_e64 v13, v37, v1, s[0:1]
	v_mul_f64 v[46:47], v[35:36], v[40:41]
	v_fma_f64 v[40:41], v[22:23], -2.0, v[40:41]
	v_mul_f64 v[29:30], v[12:13], v[12:13]
	v_cmp_gt_f64_e64 s[0:1], s[50:51], v[12:13]
	v_mov_b32_e32 v0, 0x3c9cd2b2
	v_add_f64 v[33:34], v[22:23], v[22:23]
	v_add_f64 v[22:23], v[22:23], -1.0
	v_mul_f64 v[35:36], v[35:36], -v[4:5]
	v_div_scale_f64 v[48:49], s[2:3], v[46:47], v[46:47], 1.0
	v_mul_f64 v[40:41], v[20:21], v[40:41]
	v_cndmask_b32_e64 v30, v30, v0, s[0:1]
	v_mov_b32_e32 v0, 0x97d889bc
	v_cndmask_b32_e64 v29, v29, v0, s[0:1]
	s_waitcnt vmcnt(0)
	v_mul_f64 v[35:36], v[35:36], v[52:53]
	v_rcp_f64_e32 v[56:57], v[48:49]
	v_fma_f64 v[58:59], -v[48:49], v[56:57], 1.0
	v_fma_f64 v[56:57], v[56:57], v[58:59], v[56:57]
	v_fma_f64 v[58:59], -v[48:49], v[56:57], 1.0
	v_fma_f64 v[56:57], v[56:57], v[58:59], v[56:57]
	v_div_scale_f64 v[58:59], vcc, 1.0, v[46:47], 1.0
	v_mul_f64 v[14:15], v[58:59], v[56:57]
	v_fma_f64 v[48:49], -v[48:49], v[14:15], v[58:59]
	s_nop 1
	v_div_fmas_f64 v[14:15], v[48:49], v[56:57], v[14:15]
	v_div_scale_f64 v[48:49], s[2:3], v[29:30], v[29:30], v[40:41]
	s_mov_b32 s2, 0
	s_mov_b32 s3, 0x3fd5e000
	v_div_fixup_f64 v[14:15], v[14:15], v[46:47], 1.0
	v_rcp_f64_e32 v[56:57], v[48:49]
	v_mul_f64 v[46:47], s[12:13], v[33:34]
	v_fma_f64 v[58:59], -v[48:49], v[56:57], 1.0
	v_fma_f64 v[56:57], v[56:57], v[58:59], v[56:57]
	v_fma_f64 v[58:59], -v[48:49], v[56:57], 1.0
	v_fma_f64 v[56:57], v[56:57], v[58:59], v[56:57]
	v_div_scale_f64 v[58:59], vcc, v[40:41], v[29:30], v[40:41]
	v_mul_f64 v[0:1], v[58:59], v[56:57]
	v_fma_f64 v[48:49], -v[48:49], v[0:1], v[58:59]
	v_mov_b32_e32 v59, v51
	v_mov_b32_e32 v58, v50
	v_div_fmas_f64 v[0:1], v[48:49], v[56:57], v[0:1]
	v_mov_b32_e32 v57, v21
	v_mov_b32_e32 v56, v20
	v_div_fixup_f64 v[0:1], v[0:1], v[29:30], v[40:41]
	v_add_f64 v[40:41], v[60:61], v[2:3]
	v_mov_b32_e32 v2, 0x3e45798e
	v_cndmask_b32_e64 v13, v13, v2, s[0:1]
	v_mov_b32_e32 v2, 0xe2308c3a
	v_cndmask_b32_e64 v12, v12, v2, s[0:1]
	v_fma_f64 v[0:1], s[12:13], v[33:34], v[0:1]
	v_mul_f64 v[33:34], v[33:34], v[40:41]
	v_mul_f64 v[0:1], v[14:15], v[0:1]
	v_fma_f64 v[40:41], -v[20:21], v[46:47], v[33:34]
	v_fma_f64 v[33:34], -v[50:51], v[22:23], v[33:34]
	buffer_load_dword v50, off, s[96:99], 0 offset:80 ; 4-byte Folded Reload
	buffer_load_dword v51, off, s[96:99], 0 offset:84 ; 4-byte Folded Reload
	;; [unrolled: 1-line block ×8, first 2 shown]
	v_mul_f64 v[0:1], v[18:19], v[0:1]
	v_fma_f64 v[46:47], v[40:41], v[14:15], 1.0
	v_add_f64 v[40:41], v[4:5], v[4:5]
	v_mul_f64 v[4:5], v[4:5], v[40:41]
	v_mul_f64 v[4:5], v[22:23], v[4:5]
	;; [unrolled: 1-line block ×3, first 2 shown]
	s_waitcnt vmcnt(6)
	v_add_f64 v[33:34], v[33:34], -v[50:51]
	s_waitcnt vmcnt(4)
	v_mul_f64 v[12:13], -v[12:13], v[10:11]
	v_fma_f64 v[4:5], v[33:34], v[14:15], -v[4:5]
	v_mul_f64 v[14:15], v[29:30], v[29:30]
	s_waitcnt vmcnt(2)
	v_div_scale_f64 v[22:23], s[0:1], v[14:15], v[14:15], v[48:49]
	s_mov_b32 s0, 0xed097b42
	s_mov_b32 s1, 0x3f9e3425
	v_rcp_f64_e32 v[29:30], v[22:23]
	v_fma_f64 v[33:34], -v[22:23], v[29:30], 1.0
	v_fma_f64 v[29:30], v[29:30], v[33:34], v[29:30]
	v_fma_f64 v[33:34], -v[22:23], v[29:30], 1.0
	v_fma_f64 v[29:30], v[29:30], v[33:34], v[29:30]
	v_div_scale_f64 v[33:34], vcc, v[48:49], v[14:15], v[48:49]
	v_mul_f64 v[40:41], v[33:34], v[29:30]
	v_fma_f64 v[22:23], -v[22:23], v[40:41], v[33:34]
	s_nop 1
	v_div_fmas_f64 v[22:23], v[22:23], v[29:30], v[40:41]
	s_mov_b32 vcc_lo, 0
	s_mov_b32 vcc_hi, 0x3fafa000
	v_div_fixup_f64 v[14:15], v[22:23], v[14:15], v[48:49]
	v_mov_b32_e32 v22, v60
	v_mov_b32_e32 v23, v61
	v_add_f64 v[14:15], v[14:15], -v[60:61]
	v_mov_b32_e32 v61, v9
	v_mov_b32_e32 v60, v8
	v_mul_f64 v[12:13], v[14:15], v[12:13]
	v_mul_f64 v[14:15], v[18:19], v[35:36]
	;; [unrolled: 1-line block ×3, first 2 shown]
	s_waitcnt vmcnt(0)
	v_fma_f64 v[2:3], v[14:15], s[20:21], v[2:3]
	buffer_store_dword v2, off, s[96:99], 0 offset:168 ; 4-byte Folded Spill
	s_nop 0
	buffer_store_dword v3, off, s[96:99], 0 offset:172 ; 4-byte Folded Spill
	buffer_load_dword v2, off, s[96:99], 0 offset:304 ; 4-byte Folded Reload
	s_nop 0
	buffer_load_dword v3, off, s[96:99], 0 offset:308 ; 4-byte Folded Reload
	s_waitcnt vmcnt(0)
	v_fma_f64 v[2:3], v[2:3], s[20:21], v[6:7]
	buffer_store_dword v2, off, s[96:99], 0 offset:160 ; 4-byte Folded Spill
	s_nop 0
	buffer_store_dword v3, off, s[96:99], 0 offset:164 ; 4-byte Folded Spill
	buffer_load_dword v2, off, s[96:99], 0 offset:176 ; 4-byte Folded Reload
	s_nop 0
	buffer_load_dword v3, off, s[96:99], 0 offset:180 ; 4-byte Folded Reload
	s_waitcnt vmcnt(0)
	v_fma_f64 v[40:41], v[0:1], s[6:7], v[2:3]
	v_mul_f64 v[0:1], v[18:19], v[46:47]
	v_fma_f64 v[12:13], v[0:1], s[6:7], v[38:39]
	v_mul_f64 v[0:1], v[18:19], -v[4:5]
	v_mul_f64 v[4:5], v[18:19], v[10:11]
	s_movk_i32 s6, 0x1f8
	v_fma_f64 v[38:39], v[0:1], s[20:21], v[24:25]
	v_fma_f64 v[2:3], v[4:5], s[20:21], v[27:28]
	buffer_store_dword v2, off, s[96:99], 0 offset:176 ; 4-byte Folded Spill
	s_nop 0
	buffer_store_dword v3, off, s[96:99], 0 offset:180 ; 4-byte Folded Spill
	buffer_load_dword v6, off, s[96:99], 0 offset:48 ; 4-byte Folded Reload
	buffer_load_dword v7, off, s[96:99], 0 offset:52 ; 4-byte Folded Reload
	s_nop 0
	buffer_load_dword v2, off, s[96:99], 0 offset:16 ; 4-byte Folded Reload
	buffer_load_dword v3, off, s[96:99], 0 offset:20 ; 4-byte Folded Reload
	buffer_load_dword v10, off, s[96:99], 0 offset:128 ; 4-byte Folded Reload
	buffer_load_dword v11, off, s[96:99], 0 offset:132 ; 4-byte Folded Reload
	s_waitcnt vmcnt(2)
	v_fma_f64 v[6:7], v[2:3], s[0:1], v[6:7]
	buffer_load_dword v2, off, s[96:99], 0 offset:112 ; 4-byte Folded Reload
	buffer_load_dword v3, off, s[96:99], 0 offset:116 ; 4-byte Folded Reload
	s_waitcnt vmcnt(2)
	v_fma_f64 v[6:7], v[10:11], s[2:3], v[6:7]
	s_waitcnt vmcnt(0)
	v_fma_f64 v[6:7], v[2:3], s[8:9], v[6:7]
	v_fma_f64 v[6:7], v[16:17], s[68:69], v[6:7]
	v_fma_f64 v[34:35], v[4:5], vcc, v[6:7]
	buffer_load_dword v2, off, s[96:99], 0 offset:40 ; 4-byte Folded Reload
	buffer_load_dword v3, off, s[96:99], 0 offset:44 ; 4-byte Folded Reload
	;; [unrolled: 1-line block ×4, first 2 shown]
	s_waitcnt vmcnt(0)
	v_fma_f64 v[4:5], v[4:5], s[0:1], v[2:3]
	buffer_load_dword v2, off, s[96:99], 0 offset:136 ; 4-byte Folded Reload
	buffer_load_dword v3, off, s[96:99], 0 offset:140 ; 4-byte Folded Reload
	s_waitcnt vmcnt(0)
	v_fma_f64 v[4:5], v[2:3], s[2:3], v[4:5]
	v_fma_f64 v[4:5], v[54:55], s[8:9], v[4:5]
	v_mov_b32_e32 v54, 0x7ff80000
	v_fma_f64 v[4:5], v[60:61], s[68:69], v[4:5]
	v_fma_f64 v[6:7], v[0:1], vcc, v[4:5]
	buffer_load_dword v0, off, s[96:99], 0 offset:32 ; 4-byte Folded Reload
	buffer_load_dword v1, off, s[96:99], 0 offset:36 ; 4-byte Folded Reload
	buffer_load_dword v2, off, s[96:99], 0 offset:8 ; 4-byte Folded Reload
	buffer_load_dword v3, off, s[96:99], 0 offset:12 ; 4-byte Folded Reload
	s_waitcnt vmcnt(0)
	v_fma_f64 v[0:1], v[2:3], s[0:1], v[0:1]
	buffer_load_dword v2, off, s[96:99], 0 offset:120 ; 4-byte Folded Reload
	buffer_load_dword v3, off, s[96:99], 0 offset:124 ; 4-byte Folded Reload
	s_waitcnt vmcnt(0)
	v_fma_f64 v[0:1], v[2:3], s[2:3], v[0:1]
	buffer_load_dword v2, off, s[96:99], 0 offset:96 ; 4-byte Folded Reload
	buffer_load_dword v3, off, s[96:99], 0 offset:100 ; 4-byte Folded Reload
	buffer_load_dword v16, off, s[96:99], 0 offset:208 ; 4-byte Folded Reload
	buffer_load_dword v17, off, s[96:99], 0 offset:212 ; 4-byte Folded Reload
	s_waitcnt vmcnt(2)
	v_fma_f64 v[0:1], v[2:3], s[8:9], v[0:1]
	v_fma_f64 v[0:1], v[42:43], s[68:69], v[0:1]
	v_fma_f64 v[10:11], v[14:15], vcc, v[0:1]
	s_waitcnt vmcnt(0)
	v_cmp_class_f64_e64 vcc, v[16:17], s6
	buffer_load_dword v16, off, s[96:99], 0 offset:292 ; 4-byte Folded Reload
	buffer_load_dword v2, off, s[96:99], 0 offset:256 ; 4-byte Folded Reload
	;; [unrolled: 1-line block ×5, first 2 shown]
	s_waitcnt vmcnt(4)
	v_and_b32_e32 v0, 1, v16
	v_cmp_eq_u32_e64 s[0:1], 0, v0
	s_waitcnt vmcnt(2)
	v_mul_f64 v[0:1], v[2:3], v[2:3]
	s_waitcnt vmcnt(0)
	v_mul_f64 v[24:25], v[8:9], 0.5
	v_fma_f64 v[14:15], v[0:1], s[36:37], v[44:45]
	v_mul_f64 v[4:5], v[2:3], -v[0:1]
	v_fma_f64 v[28:29], v[0:1], s[22:23], v[31:32]
	v_mul_f64 v[26:27], v[0:1], v[0:1]
	v_fma_f64 v[14:15], v[0:1], v[14:15], s[38:39]
	v_fma_f64 v[28:29], v[0:1], v[28:29], s[24:25]
	;; [unrolled: 1-line block ×7, first 2 shown]
	v_fma_f64 v[14:15], v[0:1], v[14:15], -v[8:9]
	v_fma_f64 v[4:5], v[4:5], s[44:45], v[14:15]
	v_mul_f64 v[14:15], v[0:1], 0.5
	v_fma_f64 v[0:1], v[0:1], v[28:29], s[30:31]
	v_add_f64 v[4:5], v[2:3], -v[4:5]
	v_add_f64 v[24:25], -v[14:15], 1.0
	v_add_f64 v[28:29], -v[24:25], 1.0
	v_add_f64 v[14:15], v[28:29], -v[14:15]
	v_fma_f64 v[8:9], v[2:3], -v[8:9], v[14:15]
	buffer_load_dword v2, off, s[96:99], 0 offset:240 ; 4-byte Folded Reload
	buffer_load_dword v3, off, s[96:99], 0 offset:244 ; 4-byte Folded Reload
	v_fma_f64 v[0:1], v[26:27], v[0:1], v[8:9]
	v_add_f64 v[0:1], v[24:25], v[0:1]
	buffer_load_dword v24, off, s[96:99], 0 offset:280 ; 4-byte Folded Reload
	buffer_load_dword v25, off, s[96:99], 0 offset:284 ; 4-byte Folded Reload
	v_cndmask_b32_e64 v0, v0, v4, s[0:1]
	v_lshlrev_b32_e32 v4, 30, v16
	v_xor_b32_e32 v4, v4, v17
	v_cndmask_b32_e64 v1, v1, v5, s[0:1]
	v_and_b32_e32 v4, 0x80000000, v4
	v_xor_b32_e32 v1, v1, v4
	v_cndmask_b32_e32 v8, 0, v0, vcc
	v_cndmask_b32_e32 v9, v37, v1, vcc
	s_waitcnt vmcnt(2)
	v_mul_f64 v[16:17], v[2:3], v[2:3]
	v_mul_f64 v[0:1], v[16:17], 0.5
	v_fma_f64 v[20:21], v[16:17], s[22:23], v[31:32]
	v_add_f64 v[4:5], -v[0:1], 1.0
	v_fma_f64 v[20:21], v[16:17], v[20:21], s[24:25]
	v_add_f64 v[14:15], -v[4:5], 1.0
	v_fma_f64 v[20:21], v[16:17], v[20:21], s[26:27]
	v_add_f64 v[0:1], v[14:15], -v[0:1]
	v_fma_f64 v[20:21], v[16:17], v[20:21], s[28:29]
	v_mul_f64 v[14:15], v[16:17], v[16:17]
	s_waitcnt vmcnt(0)
	v_fma_f64 v[0:1], v[2:3], -v[24:25], v[0:1]
	v_fma_f64 v[20:21], v[16:17], v[20:21], s[30:31]
	v_fma_f64 v[0:1], v[14:15], v[20:21], v[0:1]
	v_mul_f64 v[20:21], v[2:3], -v[16:17]
	v_mul_f64 v[14:15], v[24:25], 0.5
	v_add_f64 v[4:5], v[4:5], v[0:1]
	v_fma_f64 v[0:1], v[16:17], s[36:37], v[44:45]
	v_fma_f64 v[0:1], v[16:17], v[0:1], s[38:39]
	;; [unrolled: 1-line block ×5, first 2 shown]
	v_add_f64 v[14:15], v[10:11], v[10:11]
	v_fma_f64 v[16:17], v[16:17], v[0:1], -v[24:25]
	v_fma_f64 v[0:1], v[20:21], s[44:45], v[16:17]
	v_add_f64 v[0:1], v[2:3], -v[0:1]
	buffer_load_dword v3, off, s[96:99], 0 offset:288 ; 4-byte Folded Reload
	v_xor_b32_e32 v1, 0x80000000, v1
	s_waitcnt vmcnt(0)
	v_and_b32_e32 v2, 1, v3
	v_cmp_eq_u32_e64 s[0:1], 0, v2
	v_lshlrev_b32_e32 v2, 30, v3
	v_cndmask_b32_e64 v1, v1, v5, s[0:1]
	v_and_b32_e32 v2, 0x80000000, v2
	v_cndmask_b32_e64 v0, v0, v4, s[0:1]
	v_xor_b32_e32 v1, v1, v2
	v_cndmask_b32_e32 v24, 0, v0, vcc
	v_cndmask_b32_e32 v25, v37, v1, vcc
	v_mul_f64 v[0:1], v[8:9], v[8:9]
	v_cmp_gt_f64_e64 s[0:1], s[50:51], v[8:9]
	v_mov_b32_e32 v2, 0x3c9cd2b2
	v_cndmask_b32_e64 v17, v1, v2, s[0:1]
	v_cndmask_b32_e64 v16, v0, v62, s[0:1]
	v_mul_f64 v[0:1], v[24:25], v[24:25]
	v_fma_f64 v[2:3], v[10:11], v[10:11], -v[14:15]
	v_mul_f64 v[0:1], v[22:23], v[0:1]
	v_add_f64 v[2:3], v[22:23], v[2:3]
	v_fma_f64 v[0:1], v[10:11], v[10:11], v[0:1]
	v_mul_f64 v[4:5], v[2:3], v[0:1]
	v_mul_f64 v[2:3], v[2:3], -v[6:7]
	v_div_scale_f64 v[20:21], s[2:3], v[4:5], v[4:5], 1.0
	v_rcp_f64_e32 v[26:27], v[20:21]
	v_fma_f64 v[28:29], -v[20:21], v[26:27], 1.0
	v_fma_f64 v[26:27], v[26:27], v[28:29], v[26:27]
	v_fma_f64 v[28:29], -v[20:21], v[26:27], 1.0
	v_fma_f64 v[26:27], v[26:27], v[28:29], v[26:27]
	v_div_scale_f64 v[28:29], vcc, 1.0, v[4:5], 1.0
	v_mul_f64 v[30:31], v[28:29], v[26:27]
	v_fma_f64 v[20:21], -v[20:21], v[30:31], v[28:29]
	s_nop 1
	v_div_fmas_f64 v[20:21], v[20:21], v[26:27], v[30:31]
	v_div_fixup_f64 v[31:32], v[20:21], v[4:5], 1.0
	v_div_scale_f64 v[4:5], s[2:3], v[0:1], v[0:1], 1.0
	v_rcp_f64_e32 v[20:21], v[4:5]
	v_fma_f64 v[26:27], -v[4:5], v[20:21], 1.0
	v_fma_f64 v[20:21], v[20:21], v[26:27], v[20:21]
	v_fma_f64 v[26:27], -v[4:5], v[20:21], 1.0
	v_fma_f64 v[20:21], v[20:21], v[26:27], v[20:21]
	v_div_scale_f64 v[26:27], vcc, 1.0, v[0:1], 1.0
	v_mul_f64 v[28:29], v[26:27], v[20:21]
	v_fma_f64 v[4:5], -v[4:5], v[28:29], v[26:27]
	v_mul_f64 v[26:27], s[12:13], v[14:15]
	s_nop 0
	v_div_fmas_f64 v[4:5], v[4:5], v[20:21], v[28:29]
	v_div_fixup_f64 v[29:30], v[4:5], v[0:1], 1.0
	v_fma_f64 v[0:1], v[10:11], -2.0, v[0:1]
	v_mul_f64 v[4:5], v[2:3], v[29:30]
	v_mul_f64 v[0:1], v[56:57], v[0:1]
	v_mul_f64 v[2:3], v[29:30], -v[34:35]
	v_div_scale_f64 v[20:21], s[2:3], v[16:17], v[16:17], v[0:1]
	v_mul_f64 v[2:3], v[18:19], v[2:3]
	s_mov_b64 s[2:3], -1
	v_rcp_f64_e32 v[33:34], v[20:21]
	v_fma_f64 v[44:45], -v[20:21], v[33:34], 1.0
	v_fma_f64 v[33:34], v[33:34], v[44:45], v[33:34]
	v_fma_f64 v[44:45], -v[20:21], v[33:34], 1.0
	v_fma_f64 v[33:34], v[33:34], v[44:45], v[33:34]
	v_div_scale_f64 v[44:45], vcc, v[0:1], v[16:17], v[0:1]
	v_mul_f64 v[46:47], v[44:45], v[33:34]
	v_fma_f64 v[20:21], -v[20:21], v[46:47], v[44:45]
	s_nop 1
	v_div_fmas_f64 v[20:21], v[20:21], v[33:34], v[46:47]
	v_div_fixup_f64 v[0:1], v[20:21], v[16:17], v[0:1]
	v_fma_f64 v[0:1], s[12:13], v[14:15], v[0:1]
	v_mul_f64 v[20:21], v[31:32], -v[0:1]
	v_fma_f64 v[0:1], v[10:11], v[10:11], v[22:23]
	v_add_f64 v[10:11], v[10:11], -1.0
	v_mul_f64 v[0:1], v[14:15], v[0:1]
	v_fma_f64 v[14:15], -v[56:57], v[26:27], v[0:1]
	v_fma_f64 v[0:1], -v[58:59], v[10:11], v[0:1]
	v_fma_f64 v[27:28], v[14:15], v[31:32], 1.0
	v_add_f64 v[14:15], v[6:7], v[6:7]
	v_add_f64 v[0:1], v[0:1], -v[50:51]
	v_mul_f64 v[6:7], v[6:7], v[14:15]
	v_mul_f64 v[6:7], v[10:11], v[6:7]
	;; [unrolled: 1-line block ×3, first 2 shown]
	v_fma_f64 v[10:11], v[0:1], v[31:32], -v[6:7]
	v_mul_f64 v[6:7], v[16:17], v[16:17]
	v_mov_b32_e32 v0, 0x3e45798e
	v_cndmask_b32_e64 v1, v9, v0, s[0:1]
	v_mov_b32_e32 v0, 0xe2308c3a
	v_cndmask_b32_e64 v0, v8, v0, s[0:1]
	v_mul_f64 v[0:1], -v[0:1], v[24:25]
	v_mul_f64 v[10:11], v[18:19], -v[10:11]
	v_div_scale_f64 v[8:9], s[0:1], v[6:7], v[6:7], v[48:49]
	v_rcp_f64_e32 v[14:15], v[8:9]
	v_fma_f64 v[16:17], -v[8:9], v[14:15], 1.0
	v_fma_f64 v[14:15], v[14:15], v[16:17], v[14:15]
	v_fma_f64 v[16:17], -v[8:9], v[14:15], 1.0
	v_fma_f64 v[14:15], v[14:15], v[16:17], v[14:15]
	v_div_scale_f64 v[16:17], vcc, v[48:49], v[6:7], v[48:49]
	v_mul_f64 v[24:25], v[16:17], v[14:15]
	v_fma_f64 v[8:9], -v[8:9], v[24:25], v[16:17]
	v_mul_f64 v[16:17], v[18:19], v[4:5]
	s_nop 0
	v_div_fmas_f64 v[8:9], v[8:9], v[14:15], v[24:25]
	v_div_fixup_f64 v[6:7], v[8:9], v[6:7], v[48:49]
	v_mul_f64 v[8:9], v[18:19], -v[27:28]
	v_add_f64 v[6:7], v[6:7], -v[22:23]
	v_fma_f64 v[22:23], v[8:9], s[34:35], v[12:13]
	v_mul_f64 v[0:1], v[6:7], v[0:1]
	v_mul_f64 v[6:7], v[18:19], v[20:21]
	;; [unrolled: 1-line block ×3, first 2 shown]
	buffer_load_dword v0, off, s[96:99], 0 offset:168 ; 4-byte Folded Reload
	buffer_load_dword v1, off, s[96:99], 0 offset:172 ; 4-byte Folded Reload
	;; [unrolled: 1-line block ×6, first 2 shown]
	v_fma_f64 v[24:25], v[6:7], s[34:35], v[40:41]
	v_mul_f64 v[12:13], v[18:19], v[34:35]
	buffer_load_dword v35, off, s[96:99], 0 offset:368 ; 4-byte Folded Reload
	buffer_load_dword v36, off, s[96:99], 0 offset:372 ; 4-byte Folded Reload
	s_waitcnt vmcnt(6)
	v_fma_f64 v[0:1], v[16:17], s[34:35], v[0:1]
	s_waitcnt vmcnt(4)
	v_fma_f64 v[29:30], v[2:3], s[34:35], v[4:5]
	;; [unrolled: 2-line block ×3, first 2 shown]
	v_fma_f64 v[4:5], v[10:11], s[34:35], v[38:39]
	s_waitcnt vmcnt(0)
	v_div_scale_f64 v[14:15], s[0:1], v[35:36], v[35:36], v[0:1]
	v_rcp_f64_e32 v[26:27], v[14:15]
	v_fma_f64 v[31:32], -v[14:15], v[26:27], 1.0
	v_fma_f64 v[26:27], v[26:27], v[31:32], v[26:27]
	v_fma_f64 v[31:32], -v[14:15], v[26:27], 1.0
	v_fma_f64 v[26:27], v[26:27], v[31:32], v[26:27]
	v_div_scale_f64 v[31:32], vcc, v[0:1], v[35:36], v[0:1]
	v_mul_f64 v[33:34], v[31:32], v[26:27]
	v_fma_f64 v[14:15], -v[14:15], v[33:34], v[31:32]
	s_nop 1
	v_div_fmas_f64 v[14:15], v[14:15], v[26:27], v[33:34]
	v_div_fixup_f64 v[0:1], v[14:15], v[35:36], v[0:1]
	buffer_load_dword v35, off, s[96:99], 0 offset:376 ; 4-byte Folded Reload
	buffer_load_dword v36, off, s[96:99], 0 offset:380 ; 4-byte Folded Reload
	v_max_f64 v[0:1], |v[0:1]|, 0
	s_waitcnt vmcnt(0)
	v_div_scale_f64 v[14:15], s[0:1], v[35:36], v[35:36], v[29:30]
	v_rcp_f64_e32 v[26:27], v[14:15]
	v_fma_f64 v[31:32], -v[14:15], v[26:27], 1.0
	v_fma_f64 v[26:27], v[26:27], v[31:32], v[26:27]
	v_fma_f64 v[31:32], -v[14:15], v[26:27], 1.0
	v_fma_f64 v[26:27], v[26:27], v[31:32], v[26:27]
	v_div_scale_f64 v[31:32], vcc, v[29:30], v[35:36], v[29:30]
	v_mul_f64 v[33:34], v[31:32], v[26:27]
	v_fma_f64 v[14:15], -v[14:15], v[33:34], v[31:32]
	s_nop 1
	v_div_fmas_f64 v[14:15], v[14:15], v[26:27], v[33:34]
	buffer_load_dword v32, off, s[96:99], 0 offset:384 ; 4-byte Folded Reload
	buffer_load_dword v33, off, s[96:99], 0 offset:388 ; 4-byte Folded Reload
	v_div_fixup_f64 v[14:15], v[14:15], v[35:36], v[29:30]
	v_cmp_gt_f64_e64 vcc, |v[14:15]|, v[0:1]
	v_and_b32_e32 v26, 0x7fffffff, v15
	v_cndmask_b32_e32 v0, v0, v14, vcc
	v_cndmask_b32_e32 v1, v1, v26, vcc
	s_waitcnt vmcnt(0)
	v_div_scale_f64 v[14:15], s[0:1], v[32:33], v[32:33], v[24:25]
	v_rcp_f64_e32 v[26:27], v[14:15]
	v_fma_f64 v[28:29], -v[14:15], v[26:27], 1.0
	v_fma_f64 v[26:27], v[26:27], v[28:29], v[26:27]
	v_fma_f64 v[28:29], -v[14:15], v[26:27], 1.0
	v_fma_f64 v[26:27], v[26:27], v[28:29], v[26:27]
	v_div_scale_f64 v[28:29], vcc, v[24:25], v[32:33], v[24:25]
	v_mul_f64 v[30:31], v[28:29], v[26:27]
	v_fma_f64 v[14:15], -v[14:15], v[30:31], v[28:29]
	s_nop 1
	v_div_fmas_f64 v[14:15], v[14:15], v[26:27], v[30:31]
	buffer_load_dword v30, off, s[96:99], 0 offset:392 ; 4-byte Folded Reload
	buffer_load_dword v31, off, s[96:99], 0 offset:396 ; 4-byte Folded Reload
	v_div_fixup_f64 v[14:15], v[14:15], v[32:33], v[24:25]
	v_cmp_gt_f64_e64 vcc, |v[14:15]|, v[0:1]
	v_and_b32_e32 v24, 0x7fffffff, v15
	v_cndmask_b32_e32 v25, v1, v24, vcc
	v_cndmask_b32_e32 v24, v0, v14, vcc
	;; [unrolled: 19-line block ×4, first 2 shown]
	s_waitcnt vmcnt(0)
	v_div_scale_f64 v[0:1], s[0:1], v[26:27], v[26:27], v[20:21]
	s_mov_b32 s0, 0x1e900000
	s_mov_b32 s1, 0x42d6bcc4
	v_rcp_f64_e32 v[14:15], v[0:1]
	v_fma_f64 v[22:23], -v[0:1], v[14:15], 1.0
	v_fma_f64 v[14:15], v[14:15], v[22:23], v[14:15]
	v_fma_f64 v[22:23], -v[0:1], v[14:15], 1.0
	v_fma_f64 v[14:15], v[14:15], v[22:23], v[14:15]
	v_div_scale_f64 v[22:23], vcc, v[20:21], v[26:27], v[20:21]
	v_mul_f64 v[24:25], v[22:23], v[14:15]
	v_fma_f64 v[0:1], -v[0:1], v[24:25], v[22:23]
	s_nop 1
	v_div_fmas_f64 v[0:1], v[0:1], v[14:15], v[24:25]
	v_div_fixup_f64 v[0:1], v[0:1], v[26:27], v[20:21]
                                        ; implicit-def: $vgpr20_vgpr21
	v_cmp_gt_f64_e64 vcc, |v[0:1]|, v[4:5]
	v_and_b32_e32 v14, 0x7fffffff, v1
	v_cndmask_b32_e32 v1, v5, v14, vcc
	v_cndmask_b32_e32 v0, v4, v0, vcc
	v_mul_f64 v[4:5], v[0:1], s[0:1]
	v_cmp_nge_f64_e32 vcc, 1.0, v[4:5]
	s_and_saveexec_b64 s[0:1], vcc
	s_cbranch_execz .LBB1_92
; %bb.134:                              ;   in Loop: Header=BB1_93 Depth=3
	v_readlane_b32 s2, v63, 24
	v_readlane_b32 s3, v63, 25
	s_mov_b32 s2, s78
	s_mov_b32 s9, s3
	v_mul_f64 v[0:1], v[18:19], s[2:3]
	s_mov_b32 s2, 0
	s_brev_b32 s3, 8
	v_cmp_gt_f64_e32 vcc, s[2:3], v[4:5]
	v_mov_b32_e32 v28, 0x100
	v_mov_b32_e32 v29, 0xffffff80
	;; [unrolled: 1-line block ×3, first 2 shown]
	v_writelane_b32 v63, s8, 24
	v_writelane_b32 v63, s9, 25
	v_cndmask_b32_e32 v14, 0, v28, vcc
	v_ldexp_f64 v[14:15], v[4:5], v14
	v_rsq_f64_e32 v[20:21], v[14:15]
	v_mul_f64 v[22:23], v[14:15], v[20:21]
	v_mul_f64 v[20:21], v[20:21], 0.5
	v_fma_f64 v[24:25], -v[20:21], v[22:23], 0.5
	v_fma_f64 v[22:23], v[22:23], v[24:25], v[22:23]
	v_fma_f64 v[20:21], v[20:21], v[24:25], v[20:21]
	v_fma_f64 v[26:27], -v[22:23], v[22:23], v[14:15]
	v_fma_f64 v[22:23], v[26:27], v[20:21], v[22:23]
	v_fma_f64 v[24:25], -v[22:23], v[22:23], v[14:15]
	v_fma_f64 v[20:21], v[24:25], v[20:21], v[22:23]
	v_cndmask_b32_e32 v22, 0, v29, vcc
	v_cmp_class_f64_e32 vcc, v[14:15], v30
	v_ldexp_f64 v[20:21], v[20:21], v22
	v_cndmask_b32_e32 v15, v21, v15, vcc
	v_cndmask_b32_e32 v14, v20, v14, vcc
	v_cmp_gt_f64_e32 vcc, s[2:3], v[14:15]
	v_cndmask_b32_e32 v20, 0, v28, vcc
	v_ldexp_f64 v[14:15], v[14:15], v20
	v_rsq_f64_e32 v[20:21], v[14:15]
	v_mul_f64 v[22:23], v[14:15], v[20:21]
	v_mul_f64 v[20:21], v[20:21], 0.5
	v_fma_f64 v[24:25], -v[20:21], v[22:23], 0.5
	v_fma_f64 v[22:23], v[22:23], v[24:25], v[22:23]
	v_fma_f64 v[20:21], v[20:21], v[24:25], v[20:21]
	v_fma_f64 v[26:27], -v[22:23], v[22:23], v[14:15]
	v_fma_f64 v[22:23], v[26:27], v[20:21], v[22:23]
	v_fma_f64 v[24:25], -v[22:23], v[22:23], v[14:15]
	v_fma_f64 v[20:21], v[24:25], v[20:21], v[22:23]
	v_cndmask_b32_e32 v22, 0, v29, vcc
	v_cmp_class_f64_e32 vcc, v[14:15], v30
	v_ldexp_f64 v[20:21], v[20:21], v22
	v_cndmask_b32_e32 v15, v21, v15, vcc
	v_cndmask_b32_e32 v14, v20, v14, vcc
	v_div_scale_f64 v[20:21], s[2:3], v[14:15], v[14:15], v[0:1]
	v_readlane_b32 s2, v63, 26
	v_readlane_b32 s3, v63, 27
	s_mov_b32 s2, s90
	s_mov_b32 s9, s3
	v_writelane_b32 v63, s8, 26
	v_writelane_b32 v63, s9, 27
	v_rcp_f64_e32 v[22:23], v[20:21]
	v_fma_f64 v[24:25], -v[20:21], v[22:23], 1.0
	v_fma_f64 v[22:23], v[22:23], v[24:25], v[22:23]
	v_fma_f64 v[24:25], -v[20:21], v[22:23], 1.0
	v_fma_f64 v[22:23], v[22:23], v[24:25], v[22:23]
	v_div_scale_f64 v[24:25], vcc, v[0:1], v[14:15], v[0:1]
	v_mul_f64 v[26:27], v[24:25], v[22:23]
	v_fma_f64 v[20:21], -v[20:21], v[26:27], v[24:25]
	s_nop 1
	v_div_fmas_f64 v[20:21], v[20:21], v[22:23], v[26:27]
	v_div_fixup_f64 v[22:23], v[20:21], v[14:15], v[0:1]
	v_mul_f64 v[20:21], v[18:19], s[2:3]
	v_cmp_le_f64_e32 vcc, 0, v[20:21]
	s_and_saveexec_b64 s[2:3], vcc
	s_xor_b64 s[2:3], exec, s[2:3]
	s_cbranch_execz .LBB1_138
; %bb.135:                              ;   in Loop: Header=BB1_93 Depth=3
	v_cmp_gt_f64_e32 vcc, v[22:23], v[20:21]
	s_and_saveexec_b64 s[8:9], vcc
	s_xor_b64 s[8:9], exec, s[8:9]
; %bb.136:                              ;   in Loop: Header=BB1_93 Depth=3
	v_mov_b32_e32 v20, v22
	v_mov_b32_e32 v21, v23
; %bb.137:                              ;   in Loop: Header=BB1_93 Depth=3
	s_or_b64 exec, exec, s[8:9]
                                        ; implicit-def: $vgpr22_vgpr23
.LBB1_138:                              ;   in Loop: Header=BB1_93 Depth=3
	s_andn2_saveexec_b64 s[2:3], s[2:3]
	s_cbranch_execz .LBB1_91
; %bb.139:                              ;   in Loop: Header=BB1_93 Depth=3
	v_cmp_lt_f64_e32 vcc, v[22:23], v[20:21]
	s_and_saveexec_b64 s[8:9], vcc
	s_xor_b64 s[8:9], exec, s[8:9]
	s_cbranch_execz .LBB1_90
; %bb.140:                              ;   in Loop: Header=BB1_93 Depth=3
	v_mov_b32_e32 v20, v22
	v_mov_b32_e32 v21, v23
	s_branch .LBB1_90
.LBB1_141:                              ;   in Loop: Header=BB1_81 Depth=2
	s_or_b64 exec, exec, s[4:5]
	s_mov_b32 s0, 0xa34ca0c3
	s_mov_b32 s1, 0x3f28c5c9
	v_cmp_nlt_f64_e32 vcc, s[0:1], v[4:5]
                                        ; implicit-def: $vgpr56_vgpr57
	s_and_saveexec_b64 s[0:1], vcc
	s_xor_b64 s[0:1], exec, s[0:1]
	s_cbranch_execz .LBB1_143
; %bb.142:                              ;   in Loop: Header=BB1_81 Depth=2
	s_mov_b32 s2, 0
	s_mov_b32 s3, 0x40140000
	v_mul_f64 v[56:57], v[18:19], s[2:3]
.LBB1_143:                              ;   in Loop: Header=BB1_81 Depth=2
	s_or_saveexec_b64 s[4:5], s[0:1]
	buffer_load_dword v36, off, s[96:99], 0 offset:88 ; 4-byte Folded Reload
	buffer_load_dword v37, off, s[96:99], 0 offset:92 ; 4-byte Folded Reload
	s_xor_b64 exec, exec, s[4:5]
	s_cbranch_execz .LBB1_145
; %bb.144:                              ;   in Loop: Header=BB1_81 Depth=2
	v_frexp_mant_f64_e32 v[0:1], v[4:5]
	v_readlane_b32 s0, v63, 20
	v_readlane_b32 s1, v63, 21
	s_mov_b32 s0, s30
	s_mov_b32 s2, 0x4222de17
	s_mov_b32 s3, 0x3fbdee67
	s_movk_i32 s8, 0x204
	v_cmp_gt_f64_e32 vcc, s[0:1], v[0:1]
	v_cndmask_b32_e64 v14, 0, 1, vcc
	v_ldexp_f64 v[0:1], v[0:1], v14
	v_add_f64 v[14:15], v[0:1], 1.0
	v_add_f64 v[24:25], v[0:1], -1.0
	v_rcp_f64_e32 v[20:21], v[14:15]
	v_add_f64 v[26:27], v[14:15], -1.0
	v_add_f64 v[0:1], v[0:1], -v[26:27]
	v_fma_f64 v[22:23], -v[14:15], v[20:21], 1.0
	v_fma_f64 v[20:21], v[22:23], v[20:21], v[20:21]
	v_fma_f64 v[22:23], -v[14:15], v[20:21], 1.0
	v_fma_f64 v[20:21], v[22:23], v[20:21], v[20:21]
	v_mul_f64 v[22:23], v[24:25], v[20:21]
	v_mul_f64 v[28:29], v[14:15], v[22:23]
	v_fma_f64 v[14:15], v[22:23], v[14:15], -v[28:29]
	v_fma_f64 v[0:1], v[22:23], v[0:1], v[14:15]
	v_add_f64 v[14:15], v[28:29], v[0:1]
	v_add_f64 v[26:27], v[24:25], -v[14:15]
	v_add_f64 v[28:29], v[14:15], -v[28:29]
	v_add_f64 v[24:25], v[24:25], -v[26:27]
	v_add_f64 v[0:1], v[28:29], -v[0:1]
	v_add_f64 v[14:15], v[24:25], -v[14:15]
	v_add_f64 v[0:1], v[0:1], v[14:15]
	v_add_f64 v[0:1], v[26:27], v[0:1]
	buffer_load_dword v26, off, s[96:99], 0 offset:504 ; 4-byte Folded Reload
	buffer_load_dword v27, off, s[96:99], 0 offset:508 ; 4-byte Folded Reload
	v_mul_f64 v[0:1], v[20:21], v[0:1]
	v_add_f64 v[14:15], v[22:23], v[0:1]
	v_add_f64 v[20:21], v[14:15], -v[22:23]
	v_mul_f64 v[22:23], v[14:15], v[14:15]
	v_add_f64 v[0:1], v[0:1], -v[20:21]
	v_fma_f64 v[20:21], v[14:15], v[14:15], -v[22:23]
	v_add_f64 v[24:25], v[0:1], v[0:1]
	v_fma_f64 v[20:21], v[14:15], v[24:25], v[20:21]
	v_add_f64 v[24:25], v[22:23], v[20:21]
	v_add_f64 v[22:23], v[24:25], -v[22:23]
	v_mul_f64 v[32:33], v[14:15], v[24:25]
	v_add_f64 v[20:21], v[20:21], -v[22:23]
	s_waitcnt vmcnt(0)
	v_fma_f64 v[26:27], v[24:25], s[2:3], v[26:27]
	s_mov_b32 s2, 0x3abe935a
	s_mov_b32 s3, 0x3fbe25e4
	v_fma_f64 v[26:27], v[24:25], v[26:27], s[2:3]
	s_mov_b32 s2, 0x47e6c9c2
	s_mov_b32 s3, 0x3fc110ef
	;; [unrolled: 3-line block ×7, first 2 shown]
	v_fma_f64 v[26:27], v[24:25], v[26:27], s[2:3]
	s_mov_b32 s3, s1
	v_writelane_b32 v63, s2, 20
	v_writelane_b32 v63, s3, 21
	v_mul_f64 v[28:29], v[24:25], v[26:27]
	v_fma_f64 v[22:23], v[24:25], v[26:27], -v[28:29]
	v_fma_f64 v[22:23], v[20:21], v[26:27], v[22:23]
	v_add_f64 v[26:27], v[28:29], v[22:23]
	v_add_f64 v[30:31], v[26:27], s[0:1]
	v_add_f64 v[28:29], v[26:27], -v[28:29]
	v_readlane_b32 s0, v63, 8
	v_readlane_b32 s1, v63, 9
	s_mov_b32 s0, s30
	s_mov_b32 s3, s1
	v_writelane_b32 v63, s2, 8
	v_writelane_b32 v63, s3, 9
	v_add_f64 v[34:35], v[30:31], s[0:1]
	v_add_f64 v[22:23], v[22:23], -v[28:29]
	v_fma_f64 v[28:29], v[24:25], v[14:15], -v[32:33]
	s_mov_b32 s0, 0xd5df274d
	s_mov_b32 s1, 0x3c8543b0
	s_mov_b32 s2, 0x3b39803f
	s_mov_b32 s3, 0x3c7abc9e
	v_readlane_b32 s68, v63, 10
	v_add_f64 v[26:27], v[26:27], -v[34:35]
	v_add_f64 v[22:23], v[22:23], s[0:1]
	v_fma_f64 v[24:25], v[24:25], v[0:1], v[28:29]
	s_mov_b32 s0, 0xfefa39ef
	s_mov_b32 s1, 0x3fe62e42
	v_ldexp_f64 v[0:1], v[0:1], 1
	v_readlane_b32 s69, v63, 11
	v_add_f64 v[22:23], v[22:23], v[26:27]
	v_fma_f64 v[20:21], v[20:21], v[14:15], v[24:25]
	v_ldexp_f64 v[14:15], v[14:15], 1
	v_add_f64 v[24:25], v[30:31], v[22:23]
	v_add_f64 v[26:27], v[32:33], v[20:21]
	v_add_f64 v[28:29], v[30:31], -v[24:25]
	v_mul_f64 v[30:31], v[26:27], v[24:25]
	v_add_f64 v[32:33], v[26:27], -v[32:33]
	v_add_f64 v[22:23], v[22:23], v[28:29]
	v_fma_f64 v[28:29], v[26:27], v[24:25], -v[30:31]
	v_add_f64 v[20:21], v[20:21], -v[32:33]
	v_fma_f64 v[22:23], v[26:27], v[22:23], v[28:29]
	v_fma_f64 v[20:21], v[20:21], v[24:25], v[22:23]
	v_frexp_exp_i32_f64_e32 v24, v[4:5]
	v_add_f64 v[22:23], v[30:31], v[20:21]
	v_subbrev_co_u32_e32 v28, vcc, 0, v24, vcc
	v_cvt_f64_i32_e32 v[28:29], v28
	v_cmp_eq_f64_e32 vcc, 1.0, v[4:5]
	v_add_f64 v[24:25], v[14:15], v[22:23]
	v_add_f64 v[26:27], v[22:23], -v[30:31]
	v_mul_f64 v[30:31], v[28:29], s[0:1]
	v_add_f64 v[14:15], v[24:25], -v[14:15]
	v_add_f64 v[20:21], v[20:21], -v[26:27]
	v_fma_f64 v[26:27], v[28:29], s[0:1], -v[30:31]
	v_add_f64 v[14:15], v[22:23], -v[14:15]
	v_add_f64 v[0:1], v[0:1], v[20:21]
	v_fma_f64 v[20:21], v[28:29], s[2:3], v[26:27]
	v_add_f64 v[0:1], v[0:1], v[14:15]
	v_add_f64 v[14:15], v[30:31], v[20:21]
	;; [unrolled: 1-line block ×3, first 2 shown]
	v_add_f64 v[30:31], v[14:15], -v[30:31]
	v_add_f64 v[26:27], v[14:15], v[22:23]
	v_add_f64 v[24:25], v[22:23], -v[24:25]
	v_add_f64 v[20:21], v[20:21], -v[30:31]
	;; [unrolled: 1-line block ×6, first 2 shown]
	v_add_f64 v[24:25], v[20:21], v[0:1]
	v_add_f64 v[14:15], v[14:15], -v[32:33]
	v_add_f64 v[14:15], v[22:23], v[14:15]
	v_add_f64 v[22:23], v[24:25], -v[20:21]
	;; [unrolled: 2-line block ×3, first 2 shown]
	v_add_f64 v[0:1], v[0:1], -v[22:23]
	v_add_f64 v[28:29], v[26:27], v[14:15]
	v_add_f64 v[20:21], v[20:21], -v[24:25]
	v_add_f64 v[22:23], v[28:29], -v[26:27]
	v_add_f64 v[0:1], v[0:1], v[20:21]
	buffer_load_dword v26, off, s[96:99], 0 offset:512 ; 4-byte Folded Reload
	buffer_load_dword v27, off, s[96:99], 0 offset:516 ; 4-byte Folded Reload
	v_add_f64 v[14:15], v[14:15], -v[22:23]
	v_add_f64 v[0:1], v[0:1], v[14:15]
	v_mov_b32_e32 v14, 0xbfc99999
	v_mov_b32_e32 v15, 0x3ff00000
	v_cndmask_b32_e32 v15, v14, v15, vcc
	v_mov_b32_e32 v14, 0x9999999a
	v_cndmask_b32_e64 v14, v14, 0, vcc
	v_add_f64 v[4:5], v[28:29], v[0:1]
	v_add_f64 v[20:21], v[4:5], -v[28:29]
	v_mul_f64 v[22:23], v[14:15], v[4:5]
	v_add_f64 v[0:1], v[0:1], -v[20:21]
	v_fma_f64 v[4:5], v[14:15], v[4:5], -v[22:23]
	v_cmp_class_f64_e64 vcc, v[22:23], s8
	v_fma_f64 v[0:1], v[14:15], v[0:1], v[4:5]
	v_add_f64 v[4:5], v[22:23], v[0:1]
	v_cndmask_b32_e32 v15, v5, v23, vcc
	v_cndmask_b32_e32 v14, v4, v22, vcc
	v_mul_f64 v[20:21], v[14:15], s[68:69]
	v_readlane_b32 s68, v63, 12
	v_readlane_b32 s69, v63, 13
	s_mov_b32 s1, s69
	s_mov_b32 s3, s69
	v_writelane_b32 v63, s2, 12
	v_writelane_b32 v63, s3, 13
	v_add_f64 v[4:5], v[4:5], -v[22:23]
	v_rndne_f64_e32 v[20:21], v[20:21]
	v_cmp_neq_f64_e64 vcc, |v[14:15]|, s[74:75]
	v_add_f64 v[0:1], v[0:1], -v[4:5]
	v_fma_f64 v[24:25], v[20:21], s[0:1], v[14:15]
	v_readlane_b32 s0, v63, 14
	v_readlane_b32 s1, v63, 15
	s_mov_b32 s3, s1
	v_writelane_b32 v63, s0, 14
	v_writelane_b32 v63, s1, 15
	s_mov_b32 s0, 0x6a5dcb37
	s_mov_b32 s1, 0x3e5ade15
	v_fma_f64 v[24:25], v[20:21], s[2:3], v[24:25]
	v_cvt_i32_f64_e32 v20, v[20:21]
	v_mov_b32_e32 v4, 0x7ff00000
	v_cndmask_b32_e32 v1, 0, v1, vcc
	v_cndmask_b32_e32 v0, 0, v0, vcc
	s_waitcnt vmcnt(0)
	v_fma_f64 v[26:27], v[24:25], s[0:1], v[26:27]
	s_mov_b32 s0, 0x623fde64
	s_mov_b32 s1, 0x3ec71dee
	v_fma_f64 v[26:27], v[24:25], v[26:27], s[0:1]
	s_mov_b32 s0, 0x7c89e6b0
	s_mov_b32 s1, 0x3efa0199
	;; [unrolled: 3-line block ×4, first 2 shown]
	v_fma_f64 v[26:27], v[24:25], v[26:27], s[0:1]
	v_readlane_b32 s0, v63, 16
	v_readlane_b32 s1, v63, 17
	s_mov_b32 s1, s43
	s_mov_b32 s2, s0
	v_writelane_b32 v63, s2, 16
	v_writelane_b32 v63, s3, 17
	v_fma_f64 v[26:27], v[24:25], v[26:27], s[0:1]
	v_readlane_b32 s0, v63, 18
	v_readlane_b32 s1, v63, 19
	s_mov_b32 s1, s31
	s_mov_b32 s2, s0
	v_writelane_b32 v63, s2, 18
	v_writelane_b32 v63, s3, 19
	s_mov_b32 s2, 0
	v_fma_f64 v[26:27], v[24:25], v[26:27], s[0:1]
	s_mov_b32 s0, 0x55555511
	s_mov_b32 s1, 0x3fc55555
	;; [unrolled: 1-line block ×3, first 2 shown]
	v_cmp_ngt_f64_e64 s[2:3], s[2:3], v[14:15]
	v_readlane_b32 s68, v63, 24
	v_readlane_b32 s69, v63, 25
	s_mov_b32 s68, s78
	v_fma_f64 v[26:27], v[24:25], v[26:27], s[0:1]
	s_mov_b32 s0, 11
	s_mov_b32 s1, 0x3fe00000
	v_fma_f64 v[26:27], v[24:25], v[26:27], s[0:1]
	s_mov_b32 s0, 0
	s_mov_b32 s1, 0x40900000
	v_cmp_nlt_f64_e64 s[0:1], s[0:1], v[14:15]
	v_mul_f64 v[14:15], v[18:19], s[68:69]
	v_fma_f64 v[26:27], v[24:25], v[26:27], 1.0
	s_and_b64 vcc, s[2:3], s[0:1]
	v_fma_f64 v[24:25], v[24:25], v[26:27], 1.0
	v_ldexp_f64 v[20:21], v[24:25], v20
	v_cndmask_b32_e64 v4, v4, v21, s[0:1]
	v_cndmask_b32_e64 v5, 0, v4, s[2:3]
	v_cndmask_b32_e32 v4, 0, v20, vcc
	v_fma_f64 v[0:1], v[4:5], v[0:1], v[4:5]
	v_cmp_class_f64_e64 vcc, v[4:5], s8
	s_mov_b32 s1, s69
	v_writelane_b32 v63, s0, 24
	v_writelane_b32 v63, s1, 25
	v_cndmask_b32_e32 v1, v1, v5, vcc
	v_cndmask_b32_e32 v0, v0, v4, vcc
	v_mul_f64 v[56:57], v[14:15], |v[0:1]|
.LBB1_145:                              ;   in Loop: Header=BB1_81 Depth=2
	s_or_b64 exec, exec, s[4:5]
	buffer_load_dword v0, off, s[96:99], 0 offset:32 ; 4-byte Folded Reload
	buffer_load_dword v1, off, s[96:99], 0 offset:36 ; 4-byte Folded Reload
	;; [unrolled: 1-line block ×4, first 2 shown]
	s_mov_b32 s0, 0x43b990ee
	s_mov_b32 s1, 0x3fb90ee6
	s_mov_b64 s[2:3], -1
	s_mov_b64 s[4:5], -1
	s_waitcnt vmcnt(0)
	v_fma_f64 v[0:1], v[4:5], s[0:1], v[0:1]
	buffer_load_dword v4, off, s[96:99], 0 offset:96 ; 4-byte Folded Reload
	buffer_load_dword v5, off, s[96:99], 0 offset:100 ; 4-byte Folded Reload
	s_mov_b32 s0, 0x2e2bb280
	s_mov_b32 s1, 0x3fd9c3d0
	s_waitcnt vmcnt(0)
	v_fma_f64 v[0:1], v[4:5], s[0:1], v[0:1]
	buffer_load_dword v4, off, s[96:99], 0 offset:184 ; 4-byte Folded Reload
	buffer_load_dword v5, off, s[96:99], 0 offset:188 ; 4-byte Folded Reload
	s_mov_b32 s0, 0x76166929
	s_mov_b32 s1, 0x3fcaef9f
	;; [unrolled: 6-line block ×3, first 2 shown]
	v_fma_f64 v[0:1], v[16:17], s[0:1], v[0:1]
	s_mov_b32 s0, 0
	s_mov_b32 s1, 0x408f4000
	v_cmp_nlt_f64_e32 vcc, s[0:1], v[0:1]
	buffer_store_dword v0, off, s[96:99], 0 offset:32 ; 4-byte Folded Spill
	s_nop 0
	buffer_store_dword v1, off, s[96:99], 0 offset:36 ; 4-byte Folded Spill
	s_waitcnt vmcnt(2)
	v_cmp_nlt_f64_e64 s[0:1], 0, v[4:5]
	buffer_load_dword v4, off, s[96:99], 0 offset:496 ; 4-byte Folded Reload
	buffer_load_dword v5, off, s[96:99], 0 offset:500 ; 4-byte Folded Reload
	s_or_b64 s[0:1], vcc, s[0:1]
	s_waitcnt vmcnt(0)
	v_cmp_nlt_f64_e32 vcc, v[0:1], v[4:5]
	s_and_b64 s[8:9], vcc, s[0:1]
	s_and_saveexec_b64 s[0:1], s[8:9]
	s_cbranch_execz .LBB1_80
; %bb.146:                              ;   in Loop: Header=BB1_81 Depth=2
	buffer_load_dword v0, off, s[96:99], 0 offset:24 ; 4-byte Folded Reload
	buffer_load_dword v1, off, s[96:99], 0 offset:28 ; 4-byte Folded Reload
	;; [unrolled: 1-line block ×6, first 2 shown]
	s_mov_b32 s2, 0x43b990ee
	s_mov_b32 s3, 0x3fb90ee6
	s_xor_b64 s[4:5], exec, -1
	s_waitcnt vmcnt(4)
	v_fma_f64 v[0:1], v[36:37], s[2:3], v[0:1]
	s_waitcnt vmcnt(0)
	v_fma_f64 v[4:5], v[14:15], s[2:3], v[4:5]
	buffer_load_dword v14, off, s[96:99], 0 offset:488 ; 4-byte Folded Reload
	buffer_load_dword v15, off, s[96:99], 0 offset:492 ; 4-byte Folded Reload
	buffer_load_dword v16, off, s[96:99], 0 offset:416 ; 4-byte Folded Reload
	buffer_load_dword v17, off, s[96:99], 0 offset:420 ; 4-byte Folded Reload
	s_waitcnt vmcnt(0)
	v_fma_f64 v[14:15], v[16:17], s[2:3], v[14:15]
	buffer_load_dword v16, off, s[96:99], 0 offset:40 ; 4-byte Folded Reload
	buffer_load_dword v17, off, s[96:99], 0 offset:44 ; 4-byte Folded Reload
	buffer_load_dword v18, off, s[96:99], 0 offset:64 ; 4-byte Folded Reload
	buffer_load_dword v19, off, s[96:99], 0 offset:68 ; 4-byte Folded Reload
	;; [unrolled: 6-line block ×3, first 2 shown]
	s_waitcnt vmcnt(0)
	v_fma_f64 v[18:19], v[20:21], s[2:3], v[18:19]
	buffer_load_dword v20, off, s[96:99], 0 offset:104 ; 4-byte Folded Reload
	buffer_load_dword v21, off, s[96:99], 0 offset:108 ; 4-byte Folded Reload
	s_mov_b32 s2, 0x2e2bb280
	s_mov_b32 s3, 0x3fd9c3d0
	s_waitcnt vmcnt(0)
	v_fma_f64 v[0:1], v[20:21], s[2:3], v[0:1]
	buffer_load_dword v20, off, s[96:99], 0 offset:248 ; 4-byte Folded Reload
	buffer_load_dword v21, off, s[96:99], 0 offset:252 ; 4-byte Folded Reload
	s_waitcnt vmcnt(0)
	v_fma_f64 v[4:5], v[20:21], s[2:3], v[4:5]
	buffer_load_dword v20, off, s[96:99], 0 offset:432 ; 4-byte Folded Reload
	buffer_load_dword v21, off, s[96:99], 0 offset:436 ; 4-byte Folded Reload
	;; [unrolled: 4-line block ×5, first 2 shown]
	s_mov_b32 s2, 0x76166929
	s_mov_b32 s3, 0x3fcaef9f
	v_fma_f64 v[16:17], v[60:61], s[2:3], v[16:17]
	s_waitcnt vmcnt(0)
	v_fma_f64 v[0:1], v[20:21], s[2:3], v[0:1]
	buffer_load_dword v20, off, s[96:99], 0 offset:440 ; 4-byte Folded Reload
	buffer_load_dword v21, off, s[96:99], 0 offset:444 ; 4-byte Folded Reload
	s_waitcnt vmcnt(0)
	v_fma_f64 v[4:5], v[20:21], s[2:3], v[4:5]
	buffer_load_dword v20, off, s[96:99], 0 offset:448 ; 4-byte Folded Reload
	buffer_load_dword v21, off, s[96:99], 0 offset:452 ; 4-byte Folded Reload
	;; [unrolled: 4-line block ×4, first 2 shown]
	s_mov_b32 s2, 0
	s_mov_b32 s3, 0x407f4000
	s_waitcnt vmcnt(0)
	v_cmp_gt_f64_e32 vcc, s[2:3], v[20:21]
	s_mov_b32 s2, 0x85dab4b0
	s_mov_b32 s3, 0x3fd280a6
	v_fma_f64 v[0:1], v[2:3], s[2:3], v[0:1]
	buffer_store_dword v0, off, s[96:99], 0 offset:24 ; 4-byte Folded Spill
	s_nop 0
	buffer_store_dword v1, off, s[96:99], 0 offset:28 ; 4-byte Folded Spill
	v_fma_f64 v[0:1], v[6:7], s[2:3], v[4:5]
	buffer_store_dword v0, off, s[96:99], 0 offset:480 ; 4-byte Folded Spill
	s_nop 0
	buffer_store_dword v1, off, s[96:99], 0 offset:484 ; 4-byte Folded Spill
	;; [unrolled: 4-line block ×4, first 2 shown]
	v_fma_f64 v[0:1], v[12:13], s[2:3], v[18:19]
	s_orn2_b64 s[2:3], vcc, exec
	buffer_store_dword v0, off, s[96:99], 0 offset:48 ; 4-byte Folded Spill
	s_nop 0
	buffer_store_dword v1, off, s[96:99], 0 offset:52 ; 4-byte Folded Spill
	s_branch .LBB1_80
.LBB1_147:                              ;   in Loop: Header=BB1_79 Depth=1
	v_readlane_b32 s0, v63, 36
	v_readlane_b32 s1, v63, 37
	s_or_b64 exec, exec, s[0:1]
	s_mov_b64 s[0:1], -1
                                        ; implicit-def: $vgpr18_vgpr19
	s_and_saveexec_b64 s[2:3], s[4:5]
	s_xor_b64 s[2:3], exec, s[2:3]
	v_writelane_b32 v63, s2, 36
	v_writelane_b32 v63, s3, 37
	s_cbranch_execz .LBB1_78
; %bb.148:                              ;   in Loop: Header=BB1_79 Depth=1
	buffer_load_dword v2, off, s[96:99], 0 offset:24 ; 4-byte Folded Reload
	buffer_load_dword v3, off, s[96:99], 0 offset:28 ; 4-byte Folded Reload
                                        ; implicit-def: $vgpr46
                                        ; implicit-def: $vgpr6_vgpr7
                                        ; implicit-def: $vgpr10_vgpr11
	s_waitcnt vmcnt(0)
	v_trig_preop_f64 v[28:29], |v[2:3]|, 0
	v_trig_preop_f64 v[16:17], |v[2:3]|, 1
	;; [unrolled: 1-line block ×3, first 2 shown]
	v_cmp_nlt_f64_e64 s[8:9], |v[2:3]|, s[54:55]
	v_ldexp_f64 v[30:31], |v[2:3]|, s33
	v_and_b32_e32 v48, 0x7fffffff, v3
	s_and_saveexec_b64 s[0:1], s[8:9]
	s_xor_b64 s[2:3], exec, s[0:1]
	s_cbranch_execz .LBB1_150
; %bb.149:                              ;   in Loop: Header=BB1_79 Depth=1
	buffer_load_dword v2, off, s[96:99], 0 offset:24 ; 4-byte Folded Reload
	buffer_load_dword v3, off, s[96:99], 0 offset:28 ; 4-byte Folded Reload
	s_mov_b32 s58, s60
	s_mov_b32 s73, s53
	s_waitcnt vmcnt(0)
	v_cmp_ge_f64_e64 vcc, |v[2:3]|, s[56:57]
	v_cndmask_b32_e32 v7, v48, v31, vcc
	v_cndmask_b32_e32 v6, v2, v30, vcc
	v_mul_f64 v[10:11], v[28:29], v[6:7]
	v_mul_f64 v[2:3], v[16:17], v[6:7]
	;; [unrolled: 1-line block ×3, first 2 shown]
	v_fma_f64 v[12:13], v[28:29], v[6:7], -v[10:11]
	v_add_f64 v[14:15], v[2:3], v[12:13]
	v_add_f64 v[20:21], v[14:15], -v[2:3]
	v_add_f64 v[18:19], v[10:11], v[14:15]
	v_add_f64 v[12:13], v[12:13], -v[20:21]
	v_add_f64 v[20:21], v[14:15], -v[20:21]
	v_ldexp_f64 v[4:5], v[18:19], -2
	v_add_f64 v[20:21], v[2:3], -v[20:21]
	v_fract_f64_e32 v[8:9], v[4:5]
	v_cmp_neq_f64_e64 vcc, |v[4:5]|, s[74:75]
	v_add_f64 v[12:13], v[12:13], v[20:21]
	v_fma_f64 v[20:21], v[16:17], v[6:7], -v[2:3]
	v_add_f64 v[2:3], v[18:19], -v[10:11]
	v_ldexp_f64 v[8:9], v[8:9], 2
	v_fma_f64 v[6:7], v[0:1], v[6:7], -v[22:23]
	v_add_f64 v[24:25], v[22:23], v[20:21]
	v_add_f64 v[10:11], v[14:15], -v[2:3]
	v_cndmask_b32_e32 v5, 0, v9, vcc
	v_cndmask_b32_e32 v4, 0, v8, vcc
	v_add_f64 v[26:27], v[24:25], v[12:13]
	v_add_f64 v[2:3], v[10:11], v[26:27]
	v_add_f64 v[14:15], v[26:27], -v[24:25]
	v_add_f64 v[8:9], v[2:3], v[4:5]
	v_add_f64 v[12:13], v[12:13], -v[14:15]
	v_add_f64 v[14:15], v[26:27], -v[14:15]
	;; [unrolled: 1-line block ×3, first 2 shown]
	v_cmp_gt_f64_e32 vcc, 0, v[8:9]
	buffer_load_dword v8, off, s[96:99], 0  ; 4-byte Folded Reload
	buffer_load_dword v9, off, s[96:99], 0 offset:4 ; 4-byte Folded Reload
	v_add_f64 v[14:15], v[24:25], -v[14:15]
	v_add_f64 v[10:11], v[26:27], -v[10:11]
	v_add_f64 v[12:13], v[12:13], v[14:15]
	v_add_f64 v[14:15], v[24:25], -v[22:23]
	v_add_f64 v[18:19], v[20:21], -v[14:15]
	;; [unrolled: 1-line block ×4, first 2 shown]
	v_add_f64 v[14:15], v[18:19], v[14:15]
	v_add_f64 v[12:13], v[14:15], v[12:13]
	;; [unrolled: 1-line block ×4, first 2 shown]
	s_waitcnt vmcnt(1)
	v_mov_b32_e32 v11, v8
	v_mov_b32_e32 v8, 0x40100000
	v_cndmask_b32_e32 v12, 0, v8, vcc
	v_add_f64 v[4:5], v[4:5], v[11:12]
	s_waitcnt vmcnt(0)
	v_add_f64 v[8:9], v[2:3], v[4:5]
	v_cvt_i32_f64_e32 v10, v[8:9]
	v_cvt_f64_i32_e32 v[8:9], v10
	v_add_f64 v[4:5], v[4:5], -v[8:9]
	v_add_f64 v[8:9], v[2:3], v[4:5]
	v_add_f64 v[4:5], v[8:9], -v[4:5]
	v_cmp_le_f64_e32 vcc, 0.5, v[8:9]
	v_add_f64 v[2:3], v[2:3], -v[4:5]
	v_mov_b32_e32 v4, 0x3ff00000
	v_cndmask_b32_e32 v12, 0, v4, vcc
	v_mov_b32_e32 v4, v11
	buffer_store_dword v4, off, s[96:99], 0 ; 4-byte Folded Spill
	s_nop 0
	buffer_store_dword v5, off, s[96:99], 0 offset:4 ; 4-byte Folded Spill
	v_add_f64 v[4:5], v[8:9], -v[11:12]
	v_addc_co_u32_e64 v46, s[0:1], 0, v10, vcc
	v_add_f64 v[2:3], v[6:7], v[2:3]
	v_add_f64 v[6:7], v[4:5], v[2:3]
	v_add_f64 v[4:5], v[6:7], -v[4:5]
	v_add_f64 v[2:3], v[2:3], -v[4:5]
	v_mul_f64 v[4:5], v[6:7], s[58:59]
	v_fma_f64 v[8:9], v[6:7], s[58:59], -v[4:5]
	v_fma_f64 v[6:7], v[6:7], s[72:73], v[8:9]
	v_fma_f64 v[2:3], v[2:3], s[58:59], v[6:7]
	v_add_f64 v[6:7], v[4:5], v[2:3]
	v_add_f64 v[4:5], v[6:7], -v[4:5]
	v_add_f64 v[10:11], v[2:3], -v[4:5]
	s_andn2_saveexec_b64 s[0:1], s[2:3]
	s_cbranch_execz .LBB1_152
	s_branch .LBB1_151
.LBB1_150:                              ;   in Loop: Header=BB1_79 Depth=1
	s_andn2_saveexec_b64 s[0:1], s[2:3]
	s_cbranch_execz .LBB1_152
.LBB1_151:                              ;   in Loop: Header=BB1_79 Depth=1
	buffer_load_dword v4, off, s[96:99], 0 offset:24 ; 4-byte Folded Reload
	buffer_load_dword v5, off, s[96:99], 0 offset:28 ; 4-byte Folded Reload
	s_mov_b32 s52, s64
	s_waitcnt vmcnt(0)
	v_mul_f64 v[2:3], |v[4:5]|, s[62:63]
	v_rndne_f64_e32 v[2:3], v[2:3]
	v_fma_f64 v[4:5], v[2:3], s[60:61], |v[4:5]|
	v_mul_f64 v[6:7], v[2:3], s[64:65]
	v_cvt_i32_f64_e32 v46, v[2:3]
	v_add_f64 v[8:9], v[4:5], v[6:7]
	v_add_f64 v[10:11], v[4:5], -v[8:9]
	v_fma_f64 v[4:5], v[2:3], s[64:65], v[4:5]
	v_add_f64 v[10:11], v[10:11], v[6:7]
	v_add_f64 v[8:9], v[8:9], -v[4:5]
	v_fma_f64 v[6:7], v[2:3], s[52:53], v[6:7]
	;; [unrolled: 3-line block ×3, first 2 shown]
	v_add_f64 v[6:7], v[4:5], v[8:9]
	v_add_f64 v[4:5], v[6:7], -v[4:5]
	v_add_f64 v[10:11], v[8:9], -v[4:5]
.LBB1_152:                              ;   in Loop: Header=BB1_79 Depth=1
	s_or_b64 exec, exec, s[0:1]
                                        ; implicit-def: $vgpr47
                                        ; implicit-def: $vgpr4_vgpr5
                                        ; implicit-def: $vgpr14_vgpr15
	s_and_saveexec_b64 s[0:1], s[8:9]
	s_xor_b64 s[2:3], exec, s[0:1]
	s_cbranch_execz .LBB1_154
; %bb.153:                              ;   in Loop: Header=BB1_79 Depth=1
	buffer_load_dword v2, off, s[96:99], 0 offset:24 ; 4-byte Folded Reload
	buffer_load_dword v3, off, s[96:99], 0 offset:28 ; 4-byte Folded Reload
	s_mov_b32 s58, s60
	s_mov_b32 s73, s53
	s_waitcnt vmcnt(0)
	v_cmp_ge_f64_e64 vcc, |v[2:3]|, s[56:57]
	v_cndmask_b32_e32 v9, v48, v31, vcc
	v_cndmask_b32_e32 v8, v2, v30, vcc
	v_mul_f64 v[14:15], v[28:29], v[8:9]
	v_mul_f64 v[2:3], v[16:17], v[8:9]
	;; [unrolled: 1-line block ×3, first 2 shown]
	v_fma_f64 v[18:19], v[28:29], v[8:9], -v[14:15]
	v_add_f64 v[20:21], v[2:3], v[18:19]
	v_add_f64 v[24:25], v[20:21], -v[2:3]
	v_add_f64 v[22:23], v[14:15], v[20:21]
	v_add_f64 v[18:19], v[18:19], -v[24:25]
	v_add_f64 v[24:25], v[20:21], -v[24:25]
	v_ldexp_f64 v[4:5], v[22:23], -2
	v_add_f64 v[24:25], v[2:3], -v[24:25]
	v_fract_f64_e32 v[12:13], v[4:5]
	v_cmp_neq_f64_e64 vcc, |v[4:5]|, s[74:75]
	v_add_f64 v[18:19], v[18:19], v[24:25]
	v_fma_f64 v[24:25], v[16:17], v[8:9], -v[2:3]
	v_add_f64 v[2:3], v[22:23], -v[14:15]
	v_ldexp_f64 v[12:13], v[12:13], 2
	v_fma_f64 v[8:9], v[0:1], v[8:9], -v[26:27]
	v_add_f64 v[32:33], v[26:27], v[24:25]
	v_add_f64 v[14:15], v[20:21], -v[2:3]
	v_cndmask_b32_e32 v5, 0, v13, vcc
	v_cndmask_b32_e32 v4, 0, v12, vcc
	v_add_f64 v[34:35], v[32:33], v[18:19]
	v_add_f64 v[2:3], v[14:15], v[34:35]
	v_add_f64 v[20:21], v[34:35], -v[32:33]
	v_add_f64 v[12:13], v[2:3], v[4:5]
	v_add_f64 v[18:19], v[18:19], -v[20:21]
	v_add_f64 v[20:21], v[34:35], -v[20:21]
	;; [unrolled: 1-line block ×3, first 2 shown]
	v_cmp_gt_f64_e32 vcc, 0, v[12:13]
	buffer_load_dword v12, off, s[96:99], 0 ; 4-byte Folded Reload
	buffer_load_dword v13, off, s[96:99], 0 offset:4 ; 4-byte Folded Reload
	v_add_f64 v[20:21], v[32:33], -v[20:21]
	v_add_f64 v[14:15], v[34:35], -v[14:15]
	v_add_f64 v[18:19], v[18:19], v[20:21]
	v_add_f64 v[20:21], v[32:33], -v[26:27]
	v_add_f64 v[22:23], v[24:25], -v[20:21]
	;; [unrolled: 1-line block ×4, first 2 shown]
	v_add_f64 v[20:21], v[22:23], v[20:21]
	v_add_f64 v[18:19], v[20:21], v[18:19]
	;; [unrolled: 1-line block ×4, first 2 shown]
	s_waitcnt vmcnt(1)
	v_mov_b32_e32 v18, v12
	v_mov_b32_e32 v12, 0x40100000
	v_cndmask_b32_e32 v19, 0, v12, vcc
	v_add_f64 v[4:5], v[4:5], v[18:19]
	s_waitcnt vmcnt(0)
	v_add_f64 v[12:13], v[2:3], v[4:5]
	v_cvt_i32_f64_e32 v14, v[12:13]
	v_cvt_f64_i32_e32 v[12:13], v14
	v_add_f64 v[4:5], v[4:5], -v[12:13]
	v_add_f64 v[12:13], v[2:3], v[4:5]
	v_add_f64 v[4:5], v[12:13], -v[4:5]
	v_cmp_le_f64_e32 vcc, 0.5, v[12:13]
	v_add_f64 v[2:3], v[2:3], -v[4:5]
	v_mov_b32_e32 v4, 0x3ff00000
	v_cndmask_b32_e32 v19, 0, v4, vcc
	v_mov_b32_e32 v4, v18
	buffer_store_dword v4, off, s[96:99], 0 ; 4-byte Folded Spill
	s_nop 0
	buffer_store_dword v5, off, s[96:99], 0 offset:4 ; 4-byte Folded Spill
	v_add_f64 v[4:5], v[12:13], -v[18:19]
	v_addc_co_u32_e64 v47, s[0:1], 0, v14, vcc
	v_add_f64 v[2:3], v[8:9], v[2:3]
	v_add_f64 v[8:9], v[4:5], v[2:3]
	v_add_f64 v[4:5], v[8:9], -v[4:5]
	v_mul_f64 v[12:13], v[8:9], s[58:59]
	v_add_f64 v[2:3], v[2:3], -v[4:5]
	v_fma_f64 v[4:5], v[8:9], s[58:59], -v[12:13]
	v_fma_f64 v[4:5], v[8:9], s[72:73], v[4:5]
	v_fma_f64 v[2:3], v[2:3], s[58:59], v[4:5]
	v_add_f64 v[4:5], v[12:13], v[2:3]
	v_add_f64 v[8:9], v[4:5], -v[12:13]
	v_add_f64 v[14:15], v[2:3], -v[8:9]
	s_andn2_saveexec_b64 s[0:1], s[2:3]
	s_cbranch_execnz .LBB1_155
	s_branch .LBB1_156
.LBB1_154:                              ;   in Loop: Header=BB1_79 Depth=1
	s_andn2_saveexec_b64 s[0:1], s[2:3]
	s_cbranch_execz .LBB1_156
.LBB1_155:                              ;   in Loop: Header=BB1_79 Depth=1
	buffer_load_dword v4, off, s[96:99], 0 offset:24 ; 4-byte Folded Reload
	buffer_load_dword v5, off, s[96:99], 0 offset:28 ; 4-byte Folded Reload
	s_mov_b32 s52, s64
	s_waitcnt vmcnt(0)
	v_mul_f64 v[2:3], |v[4:5]|, s[62:63]
	v_rndne_f64_e32 v[2:3], v[2:3]
	v_fma_f64 v[4:5], v[2:3], s[60:61], |v[4:5]|
	v_mul_f64 v[8:9], v[2:3], s[64:65]
	v_cvt_i32_f64_e32 v47, v[2:3]
	v_fma_f64 v[18:19], v[2:3], s[64:65], v[4:5]
	v_add_f64 v[12:13], v[4:5], v[8:9]
	v_add_f64 v[14:15], v[4:5], -v[12:13]
	v_add_f64 v[12:13], v[12:13], -v[18:19]
	v_add_f64 v[4:5], v[14:15], v[8:9]
	v_fma_f64 v[8:9], v[2:3], s[52:53], v[8:9]
	v_add_f64 v[4:5], v[12:13], v[4:5]
	v_add_f64 v[4:5], v[4:5], -v[8:9]
	v_fma_f64 v[8:9], v[2:3], s[18:19], v[4:5]
	v_add_f64 v[4:5], v[18:19], v[8:9]
	v_add_f64 v[12:13], v[4:5], -v[18:19]
	v_add_f64 v[14:15], v[8:9], -v[12:13]
.LBB1_156:                              ;   in Loop: Header=BB1_79 Depth=1
	s_or_b64 exec, exec, s[0:1]
	buffer_load_dword v2, off, s[96:99], 0 offset:32 ; 4-byte Folded Reload
	buffer_load_dword v3, off, s[96:99], 0 offset:36 ; 4-byte Folded Reload
	;; [unrolled: 1-line block ×4, first 2 shown]
                                        ; implicit-def: $vgpr22_vgpr23
                                        ; implicit-def: $vgpr24_vgpr25
	s_waitcnt vmcnt(2)
	v_add_f64 v[12:13], v[2:3], v[2:3]
	v_mul_f64 v[18:19], v[2:3], v[2:3]
	s_waitcnt vmcnt(0)
	v_cmp_nlt_f64_e32 vcc, v[2:3], v[20:21]
	v_fma_f64 v[8:9], v[2:3], v[2:3], -v[12:13]
	buffer_load_dword v2, off, s[96:99], 0 offset:56 ; 4-byte Folded Reload
	buffer_load_dword v3, off, s[96:99], 0 offset:60 ; 4-byte Folded Reload
	s_waitcnt vmcnt(0)
	v_add_f64 v[2:3], v[2:3], v[8:9]
	s_and_saveexec_b64 s[0:1], vcc
	s_xor_b64 s[0:1], exec, s[0:1]
	s_cbranch_execz .LBB1_158
; %bb.157:                              ;   in Loop: Header=BB1_79 Depth=1
	buffer_load_dword v36, off, s[96:99], 0 offset:32 ; 4-byte Folded Reload
	buffer_load_dword v37, off, s[96:99], 0 offset:36 ; 4-byte Folded Reload
	s_mov_b32 s4, 0
	s_brev_b32 s5, 8
	v_mov_b32_e32 v32, 0x100
	v_mov_b32_e32 v34, 0xffffff80
	;; [unrolled: 1-line block ×3, first 2 shown]
	s_mov_b32 s2, 0
	s_mov_b32 s3, 0xc0080000
	s_waitcnt vmcnt(0)
	v_cmp_gt_f64_e32 vcc, s[4:5], v[36:37]
	v_cndmask_b32_e32 v2, 0, v32, vcc
	v_ldexp_f64 v[2:3], v[36:37], v2
	v_rsq_f64_e32 v[20:21], v[2:3]
	v_mul_f64 v[22:23], v[2:3], v[20:21]
	v_mul_f64 v[20:21], v[20:21], 0.5
	v_fma_f64 v[24:25], -v[20:21], v[22:23], 0.5
	v_fma_f64 v[22:23], v[22:23], v[24:25], v[22:23]
	v_fma_f64 v[20:21], v[20:21], v[24:25], v[20:21]
	v_fma_f64 v[26:27], -v[22:23], v[22:23], v[2:3]
	v_fma_f64 v[22:23], v[26:27], v[20:21], v[22:23]
	v_fma_f64 v[24:25], -v[22:23], v[22:23], v[2:3]
	v_fma_f64 v[20:21], v[24:25], v[20:21], v[22:23]
	v_cndmask_b32_e32 v22, 0, v34, vcc
	v_cmp_class_f64_e32 vcc, v[2:3], v35
	v_ldexp_f64 v[20:21], v[20:21], v22
	buffer_load_dword v22, off, s[96:99], 0 offset:536 ; 4-byte Folded Reload
	buffer_load_dword v23, off, s[96:99], 0 offset:540 ; 4-byte Folded Reload
	v_cndmask_b32_e32 v3, v21, v3, vcc
	v_cndmask_b32_e32 v2, v20, v2, vcc
	v_fma_f64 v[20:21], v[36:37], s[2:3], v[18:19]
	s_waitcnt vmcnt(0)
	v_fma_f64 v[20:21], v[22:23], v[2:3], v[20:21]
	v_cmp_gt_f64_e32 vcc, s[4:5], v[20:21]
	v_cndmask_b32_e32 v22, 0, v32, vcc
	v_ldexp_f64 v[20:21], v[20:21], v22
	v_rsq_f64_e32 v[22:23], v[20:21]
	v_mul_f64 v[24:25], v[20:21], v[22:23]
	v_mul_f64 v[22:23], v[22:23], 0.5
	v_fma_f64 v[26:27], -v[22:23], v[24:25], 0.5
	v_fma_f64 v[24:25], v[24:25], v[26:27], v[24:25]
	v_fma_f64 v[22:23], v[22:23], v[26:27], v[22:23]
	v_fma_f64 v[32:33], -v[24:25], v[24:25], v[20:21]
	v_fma_f64 v[24:25], v[32:33], v[22:23], v[24:25]
	v_fma_f64 v[26:27], -v[24:25], v[24:25], v[20:21]
	v_fma_f64 v[22:23], v[26:27], v[22:23], v[24:25]
	v_cndmask_b32_e32 v24, 0, v34, vcc
	v_cmp_class_f64_e32 vcc, v[20:21], v35
	v_ldexp_f64 v[22:23], v[22:23], v24
	v_cndmask_b32_e32 v21, v23, v21, vcc
	v_cndmask_b32_e32 v20, v22, v20, vcc
	v_mul_f64 v[22:23], v[2:3], v[20:21]
	v_fma_f64 v[2:3], s[12:13], v[2:3], v[18:19]
	v_mul_f64 v[20:21], v[36:37], v[20:21]
	v_div_scale_f64 v[24:25], s[2:3], v[22:23], v[22:23], 1.0
	v_rcp_f64_e32 v[26:27], v[24:25]
	v_fma_f64 v[32:33], -v[24:25], v[26:27], 1.0
	v_fma_f64 v[26:27], v[26:27], v[32:33], v[26:27]
	v_fma_f64 v[32:33], -v[24:25], v[26:27], 1.0
	v_fma_f64 v[26:27], v[26:27], v[32:33], v[26:27]
	v_div_scale_f64 v[32:33], vcc, 1.0, v[22:23], 1.0
	v_mul_f64 v[34:35], v[32:33], v[26:27]
	v_fma_f64 v[24:25], -v[24:25], v[34:35], v[32:33]
	s_nop 1
	v_div_fmas_f64 v[24:25], v[24:25], v[26:27], v[34:35]
	v_div_fixup_f64 v[24:25], v[24:25], v[22:23], 1.0
	v_div_scale_f64 v[22:23], s[2:3], v[20:21], v[20:21], v[2:3]
	v_rcp_f64_e32 v[26:27], v[22:23]
	v_fma_f64 v[32:33], -v[22:23], v[26:27], 1.0
	v_fma_f64 v[26:27], v[26:27], v[32:33], v[26:27]
	v_fma_f64 v[32:33], -v[22:23], v[26:27], 1.0
	v_fma_f64 v[26:27], v[26:27], v[32:33], v[26:27]
	v_div_scale_f64 v[32:33], vcc, v[2:3], v[20:21], v[2:3]
	v_mul_f64 v[34:35], v[32:33], v[26:27]
	v_fma_f64 v[22:23], -v[22:23], v[34:35], v[32:33]
	s_nop 1
	v_div_fmas_f64 v[22:23], v[22:23], v[26:27], v[34:35]
	v_div_fixup_f64 v[22:23], v[22:23], v[20:21], v[2:3]
	buffer_load_dword v2, off, s[96:99], 0 offset:56 ; 4-byte Folded Reload
	buffer_load_dword v3, off, s[96:99], 0 offset:60 ; 4-byte Folded Reload
	s_waitcnt vmcnt(0)
	v_add_f64 v[2:3], v[2:3], v[8:9]
.LBB1_158:                              ;   in Loop: Header=BB1_79 Depth=1
	s_or_saveexec_b64 s[0:1], s[0:1]
	v_mov_b32_e32 v20, 0
	v_mov_b32_e32 v21, 0
	s_xor_b64 exec, exec, s[0:1]
	s_cbranch_execz .LBB1_160
; %bb.159:                              ;   in Loop: Header=BB1_79 Depth=1
	buffer_load_dword v59, off, s[96:99], 0 offset:552 ; 4-byte Folded Reload
	buffer_load_dword v60, off, s[96:99], 0 offset:556 ; 4-byte Folded Reload
	buffer_load_dword v51, off, s[96:99], 0 offset:32 ; 4-byte Folded Reload
	buffer_load_dword v52, off, s[96:99], 0 offset:36 ; 4-byte Folded Reload
	buffer_load_dword v49, off, s[96:99], 0 offset:544 ; 4-byte Folded Reload
	buffer_load_dword v50, off, s[96:99], 0 offset:548 ; 4-byte Folded Reload
	v_writelane_b32 v63, s0, 40
	v_writelane_b32 v63, s1, 41
	v_mov_b32_e32 v58, v46
	v_mov_b32_e32 v61, v47
	;; [unrolled: 1-line block ×4, first 2 shown]
	s_mov_b32 s4, 0x3b39803f
	s_mov_b32 s5, 0x3c7abc9e
	v_mov_b32_e32 v53, 0x3ff00000
	s_movk_i32 s14, 0x204
	s_waitcnt vmcnt(4)
	v_mul_f64 v[8:9], s[12:13], v[59:60]
	s_waitcnt vmcnt(2)
	v_div_scale_f64 v[22:23], s[0:1], v[51:52], v[51:52], 2.0
	s_waitcnt vmcnt(0)
	v_div_scale_f64 v[24:25], s[0:1], v[51:52], v[51:52], v[49:50]
	v_div_scale_f64 v[42:43], s[2:3], v[49:50], v[51:52], v[49:50]
	v_add_f64 v[8:9], v[12:13], -v[8:9]
	v_mov_b32_e32 v12, v18
	v_mov_b32_e32 v13, v19
	v_div_scale_f64 v[20:21], s[0:1], v[2:3], v[2:3], v[8:9]
	v_rcp_f64_e32 v[32:33], v[22:23]
	v_rcp_f64_e32 v[34:35], v[24:25]
	v_div_scale_f64 v[40:41], vcc, v[8:9], v[2:3], v[8:9]
	v_rcp_f64_e32 v[26:27], v[20:21]
	v_fma_f64 v[38:39], -v[22:23], v[32:33], 1.0
	v_fma_f64 v[32:33], v[32:33], v[38:39], v[32:33]
	v_fma_f64 v[36:37], -v[20:21], v[26:27], 1.0
	v_fma_f64 v[44:45], -v[22:23], v[32:33], 1.0
	v_fma_f64 v[26:27], v[26:27], v[36:37], v[26:27]
	v_fma_f64 v[36:37], -v[24:25], v[34:35], 1.0
	v_fma_f64 v[32:33], v[32:33], v[44:45], v[32:33]
	;; [unrolled: 2-line block ×3, first 2 shown]
	v_div_scale_f64 v[36:37], s[0:1], 2.0, v[51:52], 2.0
	v_fma_f64 v[26:27], v[26:27], v[38:39], v[26:27]
	v_fma_f64 v[38:39], -v[24:25], v[34:35], 1.0
	v_mul_f64 v[44:45], v[40:41], v[26:27]
	v_fma_f64 v[34:35], v[34:35], v[38:39], v[34:35]
	v_mul_f64 v[38:39], v[36:37], v[32:33]
	v_fma_f64 v[20:21], -v[20:21], v[44:45], v[40:41]
	v_mul_f64 v[40:41], v[42:43], v[34:35]
	v_fma_f64 v[36:37], -v[22:23], v[38:39], v[36:37]
	v_div_fmas_f64 v[22:23], v[20:21], v[26:27], v[44:45]
	v_fma_f64 v[24:25], -v[24:25], v[40:41], v[42:43]
	s_mov_b64 vcc, s[0:1]
	v_div_fmas_f64 v[20:21], v[36:37], v[32:33], v[38:39]
	s_mov_b64 vcc, s[2:3]
	v_readlane_b32 s0, v63, 20
	v_readlane_b32 s1, v63, 21
	s_mov_b32 s0, s30
	s_mov_b32 s2, 0x4222de17
	v_div_fmas_f64 v[24:25], v[24:25], v[34:35], v[40:41]
	s_mov_b32 s3, 0x3fbdee67
	v_div_fixup_f64 v[8:9], v[22:23], v[2:3], v[8:9]
	v_div_fixup_f64 v[20:21], v[20:21], v[51:52], 2.0
	v_div_fixup_f64 v[24:25], v[24:25], v[51:52], v[49:50]
	v_add_f64 v[24:25], v[24:25], -1.0
	v_frexp_mant_f64_e64 v[26:27], |v[24:25]|
	v_cmp_gt_f64_e32 vcc, s[0:1], v[26:27]
	v_cndmask_b32_e64 v32, 0, 1, vcc
	v_ldexp_f64 v[26:27], v[26:27], v32
	v_add_f64 v[32:33], v[26:27], 1.0
	v_add_f64 v[38:39], v[26:27], -1.0
	v_rcp_f64_e32 v[34:35], v[32:33]
	v_add_f64 v[40:41], v[32:33], -1.0
	v_add_f64 v[26:27], v[26:27], -v[40:41]
	v_fma_f64 v[36:37], -v[32:33], v[34:35], 1.0
	v_fma_f64 v[34:35], v[36:37], v[34:35], v[34:35]
	v_fma_f64 v[36:37], -v[32:33], v[34:35], 1.0
	v_fma_f64 v[34:35], v[36:37], v[34:35], v[34:35]
	v_mul_f64 v[36:37], v[38:39], v[34:35]
	v_mul_f64 v[42:43], v[32:33], v[36:37]
	v_fma_f64 v[32:33], v[36:37], v[32:33], -v[42:43]
	v_fma_f64 v[26:27], v[36:37], v[26:27], v[32:33]
	v_add_f64 v[32:33], v[42:43], v[26:27]
	v_add_f64 v[40:41], v[38:39], -v[32:33]
	v_add_f64 v[42:43], v[32:33], -v[42:43]
	;; [unrolled: 1-line block ×5, first 2 shown]
	v_add_f64 v[26:27], v[26:27], v[32:33]
	v_add_f64 v[26:27], v[40:41], v[26:27]
	buffer_load_dword v40, off, s[96:99], 0 offset:504 ; 4-byte Folded Reload
	buffer_load_dword v41, off, s[96:99], 0 offset:508 ; 4-byte Folded Reload
	;; [unrolled: 1-line block ×4, first 2 shown]
	buffer_load_dword v54, off, s[96:99], 0 ; 4-byte Folded Reload
	buffer_load_dword v55, off, s[96:99], 0 offset:4 ; 4-byte Folded Reload
	v_mul_f64 v[26:27], v[34:35], v[26:27]
	v_add_f64 v[34:35], v[36:37], v[26:27]
	v_add_f64 v[32:33], v[34:35], -v[36:37]
	v_mul_f64 v[36:37], v[34:35], v[34:35]
	v_add_f64 v[32:33], v[26:27], -v[32:33]
	v_fma_f64 v[26:27], v[34:35], v[34:35], -v[36:37]
	v_add_f64 v[38:39], v[32:33], v[32:33]
	v_fma_f64 v[26:27], v[34:35], v[38:39], v[26:27]
	v_add_f64 v[38:39], v[36:37], v[26:27]
	v_add_f64 v[36:37], v[38:39], -v[36:37]
	v_mul_f64 v[44:45], v[34:35], v[38:39]
	v_add_f64 v[26:27], v[26:27], -v[36:37]
	s_waitcnt vmcnt(4)
	v_fma_f64 v[40:41], v[38:39], s[2:3], v[40:41]
	s_mov_b32 s2, 0x3abe935a
	s_mov_b32 s3, 0x3fbe25e4
	v_fma_f64 v[40:41], v[38:39], v[40:41], s[2:3]
	s_mov_b32 s2, 0x47e6c9c2
	s_mov_b32 s3, 0x3fc110ef
	;; [unrolled: 3-line block ×7, first 2 shown]
	v_fma_f64 v[40:41], v[38:39], v[40:41], s[2:3]
	s_mov_b32 s3, s1
	v_writelane_b32 v63, s2, 20
	v_writelane_b32 v63, s3, 21
	v_mul_f64 v[42:43], v[38:39], v[40:41]
	v_fma_f64 v[36:37], v[38:39], v[40:41], -v[42:43]
	v_fma_f64 v[36:37], v[26:27], v[40:41], v[36:37]
	v_fma_f64 v[40:41], v[38:39], v[34:35], -v[44:45]
	v_fma_f64 v[38:39], v[38:39], v[32:33], v[40:41]
	v_add_f64 v[40:41], v[42:43], v[36:37]
	v_ldexp_f64 v[32:33], v[32:33], 1
	v_fma_f64 v[26:27], v[26:27], v[34:35], v[38:39]
	v_add_f64 v[38:39], v[40:41], -v[42:43]
	v_add_f64 v[42:43], v[40:41], s[0:1]
	v_readlane_b32 s0, v63, 8
	v_readlane_b32 s1, v63, 9
	s_mov_b32 s0, s30
	s_mov_b32 s3, s1
	v_ldexp_f64 v[34:35], v[34:35], 1
	v_writelane_b32 v63, s2, 8
	v_add_f64 v[36:37], v[36:37], -v[38:39]
	v_add_f64 v[38:39], v[42:43], s[0:1]
	s_mov_b32 s0, 0xd5df274d
	s_mov_b32 s1, 0x3c8543b0
	v_writelane_b32 v63, s3, 9
	s_mov_b32 s2, 0xfefa39ef
	s_mov_b32 s3, 0x3fe62e42
	v_add_f64 v[36:37], v[36:37], s[0:1]
	v_add_f64 v[38:39], v[40:41], -v[38:39]
	v_add_f64 v[40:41], v[44:45], v[26:27]
	v_add_f64 v[36:37], v[36:37], v[38:39]
	v_add_f64 v[38:39], v[40:41], -v[44:45]
	v_add_f64 v[44:45], v[42:43], v[36:37]
	v_add_f64 v[26:27], v[26:27], -v[38:39]
	v_add_f64 v[38:39], v[42:43], -v[44:45]
	v_mul_f64 v[42:43], v[40:41], v[44:45]
	v_add_f64 v[36:37], v[36:37], v[38:39]
	v_fma_f64 v[38:39], v[40:41], v[44:45], -v[42:43]
	v_fma_f64 v[36:37], v[40:41], v[36:37], v[38:39]
	v_frexp_exp_i32_f64_e32 v38, v[24:25]
	v_fma_f64 v[26:27], v[26:27], v[44:45], v[36:37]
	v_subbrev_co_u32_e32 v44, vcc, 0, v38, vcc
	v_cmp_eq_f64_e32 vcc, 1.0, v[24:25]
	v_add_f64 v[36:37], v[42:43], v[26:27]
	v_add_f64 v[38:39], v[34:35], v[36:37]
	v_add_f64 v[40:41], v[36:37], -v[42:43]
	v_cvt_f64_i32_e32 v[42:43], v44
	v_mul_f64 v[44:45], v[42:43], s[2:3]
	v_add_f64 v[34:35], v[38:39], -v[34:35]
	v_add_f64 v[26:27], v[26:27], -v[40:41]
	v_fma_f64 v[40:41], v[42:43], s[2:3], -v[44:45]
	v_add_f64 v[34:35], v[36:37], -v[34:35]
	v_add_f64 v[26:27], v[32:33], v[26:27]
	v_fma_f64 v[32:33], v[42:43], s[4:5], v[40:41]
	v_add_f64 v[26:27], v[26:27], v[34:35]
	v_add_f64 v[40:41], v[44:45], v[32:33]
	;; [unrolled: 1-line block ×3, first 2 shown]
	v_add_f64 v[36:37], v[40:41], -v[44:45]
	v_add_f64 v[34:35], v[40:41], v[42:43]
	v_add_f64 v[38:39], v[42:43], -v[38:39]
	v_add_f64 v[36:37], v[32:33], -v[36:37]
	;; [unrolled: 1-line block ×7, first 2 shown]
	v_add_f64 v[40:41], v[36:37], v[38:39]
	v_add_f64 v[26:27], v[26:27], v[32:33]
	v_add_f64 v[42:43], v[40:41], -v[36:37]
	s_waitcnt vmcnt(2)
	v_div_scale_f64 v[32:33], s[0:1], v[51:52], v[51:52], v[18:19]
	v_add_f64 v[44:45], v[40:41], v[26:27]
	v_add_f64 v[26:27], v[40:41], -v[42:43]
	v_add_f64 v[38:39], v[38:39], -v[42:43]
	v_add_f64 v[40:41], v[34:35], v[44:45]
	v_add_f64 v[26:27], v[36:37], -v[26:27]
	v_rcp_f64_e32 v[36:37], v[32:33]
	v_add_f64 v[34:35], v[40:41], -v[34:35]
	v_add_f64 v[26:27], v[38:39], v[26:27]
	v_add_f64 v[34:35], v[44:45], -v[34:35]
	v_add_f64 v[26:27], v[26:27], v[34:35]
	v_fma_f64 v[34:35], -v[32:33], v[36:37], 1.0
	v_add_f64 v[38:39], v[40:41], v[26:27]
	v_fma_f64 v[34:35], v[36:37], v[34:35], v[36:37]
	v_mov_b32_e32 v36, 0x40080000
	s_waitcnt vmcnt(0)
	v_cndmask_b32_e32 v55, v36, v53, vcc
	v_div_scale_f64 v[42:43], vcc, v[18:19], v[51:52], v[18:19]
	v_add_f64 v[36:37], v[38:39], -v[40:41]
	v_mul_f64 v[40:41], v[54:55], v[38:39]
	v_fma_f64 v[44:45], -v[32:33], v[34:35], 1.0
	v_add_f64 v[26:27], v[26:27], -v[36:37]
	v_fma_f64 v[36:37], v[54:55], v[38:39], -v[40:41]
	v_fma_f64 v[38:39], v[34:35], v[44:45], v[34:35]
	v_cmp_class_f64_e64 s[0:1], v[40:41], s14
	v_fma_f64 v[34:35], v[54:55], v[26:27], v[36:37]
	v_mul_f64 v[26:27], v[42:43], v[38:39]
	v_add_f64 v[44:45], v[40:41], v[34:35]
	v_fma_f64 v[32:33], -v[32:33], v[26:27], v[42:43]
	v_cndmask_b32_e64 v43, v45, v41, s[0:1]
	v_cndmask_b32_e64 v42, v44, v40, s[0:1]
	v_readlane_b32 s0, v63, 10
	v_readlane_b32 s1, v63, 11
	v_mul_f64 v[36:37], v[42:43], s[0:1]
	v_readlane_b32 s0, v63, 12
	v_readlane_b32 s1, v63, 13
	s_mov_b32 s3, s1
	v_div_fmas_f64 v[26:27], v[32:33], v[38:39], v[26:27]
	v_writelane_b32 v63, s0, 12
	v_writelane_b32 v63, s1, 13
	v_readlane_b32 s0, v63, 14
	v_rndne_f64_e32 v[36:37], v[36:37]
	v_readlane_b32 s1, v63, 15
	s_mov_b32 s5, s1
	v_writelane_b32 v63, s0, 14
	v_writelane_b32 v63, s1, 15
	s_mov_b32 s0, 0x6a5dcb37
	s_mov_b32 s1, 0x3e5ade15
	v_add_f64 v[40:41], v[44:45], -v[40:41]
	v_fma_f64 v[32:33], v[36:37], s[2:3], v[42:43]
	v_mul_f64 v[44:45], v[54:55], 0.5
	v_cmp_eq_f64_e32 vcc, 0, v[24:25]
	v_add_f64 v[40:41], v[34:35], -v[40:41]
	v_fma_f64 v[38:39], v[36:37], s[4:5], v[32:33]
	buffer_load_dword v32, off, s[96:99], 0 offset:512 ; 4-byte Folded Reload
	buffer_load_dword v33, off, s[96:99], 0 offset:516 ; 4-byte Folded Reload
	s_mov_b32 s4, 0
	s_mov_b32 s5, 0xc090cc00
	v_cmp_ngt_f64_e64 s[4:5], s[4:5], v[42:43]
	v_cvt_i32_f64_e32 v36, v[36:37]
	s_waitcnt vmcnt(0)
	v_fma_f64 v[32:33], v[38:39], s[0:1], v[32:33]
	s_mov_b32 s0, 0x623fde64
	s_mov_b32 s1, 0x3ec71dee
	v_fma_f64 v[32:33], v[38:39], v[32:33], s[0:1]
	s_mov_b32 s0, 0x7c89e6b0
	s_mov_b32 s1, 0x3efa0199
	;; [unrolled: 3-line block ×4, first 2 shown]
	v_fma_f64 v[32:33], v[38:39], v[32:33], s[0:1]
	v_readlane_b32 s0, v63, 16
	v_readlane_b32 s1, v63, 17
	s_mov_b32 s1, s43
	s_mov_b32 s2, s0
	v_writelane_b32 v63, s2, 16
	v_writelane_b32 v63, s3, 17
	v_fma_f64 v[32:33], v[38:39], v[32:33], s[0:1]
	v_readlane_b32 s0, v63, 18
	v_readlane_b32 s1, v63, 19
	s_mov_b32 s1, s31
	s_mov_b32 s2, s0
	v_writelane_b32 v63, s2, 18
	v_writelane_b32 v63, s3, 19
	;; [unrolled: 1-line block ×3, first 2 shown]
	v_fma_f64 v[32:33], v[38:39], v[32:33], s[0:1]
	s_mov_b32 s0, 0x55555511
	s_mov_b32 s1, 0x3fc55555
	v_writelane_b32 v63, s9, 39
	s_mov_b32 s2, 0
	s_mov_b32 s3, 0x40900000
	v_cmp_nlt_f64_e64 s[2:3], s[2:3], v[42:43]
	v_fma_f64 v[32:33], v[38:39], v[32:33], s[0:1]
	s_mov_b32 s0, 11
	s_mov_b32 s1, 0x3fe00000
	v_fma_f64 v[32:33], v[38:39], v[32:33], s[0:1]
	v_cmp_neq_f64_e64 s[0:1], |v[42:43]|, s[74:75]
	v_trunc_f64_e32 v[42:43], v[44:45]
	v_fma_f64 v[49:50], v[38:39], v[32:33], 1.0
	v_div_fixup_f64 v[32:33], v[26:27], v[51:52], v[18:19]
	v_cmp_neq_f64_e64 s[68:69], v[42:43], v[44:45]
	v_fma_f64 v[26:27], v[38:39], v[49:50], 1.0
	v_div_scale_f64 v[34:35], s[8:9], v[51:52], v[51:52], v[32:33]
	v_cmp_gt_f64_e64 s[8:9], 0, v[24:25]
	v_trunc_f64_e32 v[38:39], v[54:55]
	v_ldexp_f64 v[26:27], v[26:27], v36
	v_mov_b32_e32 v36, v54
	buffer_store_dword v36, off, s[96:99], 0 ; 4-byte Folded Spill
	s_nop 0
	buffer_store_dword v37, off, s[96:99], 0 offset:4 ; 4-byte Folded Spill
	v_writelane_b32 v63, s8, 42
	v_writelane_b32 v63, s9, 43
	v_cmp_class_f64_e64 s[8:9], v[24:25], s14
	v_cndmask_b32_e64 v37, 0, v41, s[0:1]
	v_cndmask_b32_e64 v36, 0, v40, s[0:1]
	s_and_b64 s[0:1], s[4:5], s[2:3]
	v_cndmask_b32_e64 v26, 0, v26, s[0:1]
	v_writelane_b32 v63, s8, 44
	v_writelane_b32 v63, s9, 45
	v_cmp_eq_f64_e64 s[8:9], v[38:39], v[54:55]
	v_mov_b32_e32 v38, 0x7ff00000
	v_cndmask_b32_e64 v27, v38, v27, s[2:3]
	v_cndmask_b32_e64 v27, 0, v27, s[4:5]
	v_fma_f64 v[36:37], v[26:27], v[36:37], v[26:27]
	v_cmp_class_f64_e64 s[0:1], v[26:27], s14
	v_writelane_b32 v63, s68, 46
	v_writelane_b32 v63, s69, 47
	v_readlane_b32 s4, v63, 44
	v_readlane_b32 s68, v63, 46
	v_cmp_o_f64_e64 s[2:3], v[24:25], v[24:25]
	v_readlane_b32 s5, v63, 45
	v_readlane_b32 s69, v63, 47
	s_or_b64 s[4:5], vcc, s[4:5]
	v_cndmask_b32_e64 v24, v38, 0, vcc
	s_and_b64 vcc, s[8:9], s[68:69]
	v_cndmask_b32_e32 v38, v53, v25, vcc
	v_cndmask_b32_e32 v25, 0, v25, vcc
	s_brev_b32 s14, -2
	v_bfi_b32 v24, s14, v24, v25
	v_cndmask_b32_e64 v25, v36, v26, s[0:1]
	v_cndmask_b32_e64 v26, v37, v27, s[0:1]
	v_bfi_b32 v26, s14, v26, v38
	v_mov_b32_e32 v37, 0x7ff80000
	v_readlane_b32 s0, v63, 42
	v_cndmask_b32_e64 v27, 0, v25, s[8:9]
	v_cndmask_b32_e64 v36, v37, v26, s[8:9]
	v_readlane_b32 s1, v63, 43
	v_cndmask_b32_e64 v25, v25, v27, s[0:1]
	v_cndmask_b32_e64 v26, v26, v36, s[0:1]
	;; [unrolled: 1-line block ×4, first 2 shown]
	s_mov_b32 s0, 0
	v_cndmask_b32_e64 v24, 0, v25, s[2:3]
	v_cndmask_b32_e64 v25, v37, v26, s[2:3]
	s_brev_b32 s1, 8
	v_cmp_gt_f64_e64 s[0:1], s[0:1], v[24:25]
	v_mov_b32_e32 v26, 0x100
	v_div_scale_f64 v[42:43], vcc, v[32:33], v[51:52], v[32:33]
	v_readlane_b32 s8, v63, 38
	v_readlane_b32 s9, v63, 39
	v_mov_b32_e32 v54, 0x7ff80000
	v_cndmask_b32_e64 v26, 0, v26, s[0:1]
	v_ldexp_f64 v[24:25], v[24:25], v26
	v_rcp_f64_e32 v[26:27], v[34:35]
	v_rsq_f64_e32 v[36:37], v[24:25]
	v_fma_f64 v[38:39], -v[34:35], v[26:27], 1.0
	v_mul_f64 v[40:41], v[24:25], v[36:37]
	v_mul_f64 v[36:37], v[36:37], 0.5
	v_fma_f64 v[26:27], v[26:27], v[38:39], v[26:27]
	v_fma_f64 v[38:39], -v[36:37], v[40:41], 0.5
	v_fma_f64 v[44:45], -v[34:35], v[26:27], 1.0
	v_fma_f64 v[40:41], v[40:41], v[38:39], v[40:41]
	v_fma_f64 v[26:27], v[26:27], v[44:45], v[26:27]
	;; [unrolled: 1-line block ×3, first 2 shown]
	v_fma_f64 v[38:39], -v[40:41], v[40:41], v[24:25]
	v_mul_f64 v[44:45], v[42:43], v[26:27]
	v_fma_f64 v[38:39], v[38:39], v[36:37], v[40:41]
	v_fma_f64 v[34:35], -v[34:35], v[44:45], v[42:43]
	v_fma_f64 v[22:23], -v[38:39], v[38:39], v[24:25]
	v_div_fmas_f64 v[26:27], v[34:35], v[26:27], v[44:45]
	v_add_f64 v[34:35], v[8:9], 1.0
	v_fma_f64 v[8:9], s[12:13], v[8:9], v[59:60]
	v_fma_f64 v[22:23], v[22:23], v[36:37], v[38:39]
	v_fma_f64 v[20:21], v[20:21], v[34:35], 1.0
	v_mov_b32_e32 v34, 0xffffff80
	v_cndmask_b32_e64 v34, 0, v34, s[0:1]
	v_mov_b32_e32 v35, 0x260
	v_cmp_class_f64_e32 vcc, v[24:25], v35
	v_readlane_b32 s0, v63, 40
	v_ldexp_f64 v[34:35], v[22:23], v34
	v_div_fixup_f64 v[26:27], v[26:27], v[51:52], v[32:33]
	v_mul_f64 v[22:23], v[18:19], v[20:21]
	v_mov_b32_e32 v19, v13
	v_mov_b32_e32 v18, v12
	;; [unrolled: 1-line block ×3, first 2 shown]
	v_readlane_b32 s1, v63, 41
	v_mov_b32_e32 v13, v47
	v_cndmask_b32_e32 v21, v35, v25, vcc
	v_cndmask_b32_e32 v20, v34, v24, vcc
	buffer_load_dword v24, off, s[96:99], 0 offset:568 ; 4-byte Folded Reload
	buffer_load_dword v25, off, s[96:99], 0 offset:572 ; 4-byte Folded Reload
	v_mov_b32_e32 v47, v61
	v_mov_b32_e32 v46, v58
	s_waitcnt vmcnt(0)
	v_mul_f64 v[20:21], v[20:21], -v[24:25]
	v_mul_f64 v[24:25], v[26:27], v[8:9]
.LBB1_160:                              ;   in Loop: Header=BB1_79 Depth=1
	s_or_b64 exec, exec, s[0:1]
                                        ; implicit-def: $vgpr44
                                        ; implicit-def: $vgpr8_vgpr9
                                        ; implicit-def: $vgpr37_vgpr38
	s_and_saveexec_b64 s[0:1], s[8:9]
	s_xor_b64 s[2:3], exec, s[0:1]
	s_cbranch_execz .LBB1_162
; %bb.161:                              ;   in Loop: Header=BB1_79 Depth=1
	buffer_load_dword v8, off, s[96:99], 0 offset:24 ; 4-byte Folded Reload
	buffer_load_dword v9, off, s[96:99], 0 offset:28 ; 4-byte Folded Reload
	s_mov_b32 s58, s60
	s_mov_b32 s73, s53
	s_waitcnt vmcnt(0)
	v_cmp_ge_f64_e64 vcc, |v[8:9]|, s[56:57]
	v_cndmask_b32_e32 v27, v48, v31, vcc
	v_cndmask_b32_e32 v26, v8, v30, vcc
	v_mul_f64 v[34:35], v[28:29], v[26:27]
	v_mul_f64 v[8:9], v[16:17], v[26:27]
	;; [unrolled: 1-line block ×3, first 2 shown]
	v_fma_f64 v[38:39], v[28:29], v[26:27], -v[34:35]
	v_add_f64 v[40:41], v[8:9], v[38:39]
	v_add_f64 v[44:45], v[40:41], -v[8:9]
	v_add_f64 v[42:43], v[34:35], v[40:41]
	v_add_f64 v[38:39], v[38:39], -v[44:45]
	v_add_f64 v[44:45], v[40:41], -v[44:45]
	v_ldexp_f64 v[32:33], v[42:43], -2
	v_add_f64 v[44:45], v[8:9], -v[44:45]
	v_fract_f64_e32 v[36:37], v[32:33]
	v_cmp_neq_f64_e64 vcc, |v[32:33]|, s[74:75]
	v_add_f64 v[38:39], v[38:39], v[44:45]
	v_fma_f64 v[44:45], v[16:17], v[26:27], -v[8:9]
	v_add_f64 v[8:9], v[42:43], -v[34:35]
	v_fma_f64 v[26:27], v[0:1], v[26:27], -v[49:50]
	v_add_f64 v[51:52], v[49:50], v[44:45]
	v_add_f64 v[34:35], v[40:41], -v[8:9]
	v_add_f64 v[58:59], v[51:52], v[38:39]
	v_add_f64 v[40:41], v[58:59], -v[51:52]
	;; [unrolled: 2-line block ×3, first 2 shown]
	v_add_f64 v[40:41], v[58:59], -v[40:41]
	v_add_f64 v[34:35], v[8:9], -v[34:35]
	;; [unrolled: 1-line block ×4, first 2 shown]
	v_add_f64 v[38:39], v[38:39], v[40:41]
	v_add_f64 v[40:41], v[51:52], -v[49:50]
	v_add_f64 v[42:43], v[44:45], -v[40:41]
	;; [unrolled: 1-line block ×4, first 2 shown]
	v_add_f64 v[40:41], v[42:43], v[40:41]
	v_add_f64 v[38:39], v[40:41], v[38:39]
	;; [unrolled: 1-line block ×4, first 2 shown]
	v_ldexp_f64 v[26:27], v[36:37], 2
	v_cndmask_b32_e32 v27, 0, v27, vcc
	v_cndmask_b32_e32 v26, 0, v26, vcc
	v_add_f64 v[32:33], v[8:9], v[26:27]
	v_cmp_gt_f64_e32 vcc, 0, v[32:33]
	buffer_load_dword v32, off, s[96:99], 0 ; 4-byte Folded Reload
	buffer_load_dword v33, off, s[96:99], 0 offset:4 ; 4-byte Folded Reload
	s_waitcnt vmcnt(1)
	v_mov_b32_e32 v37, v32
	v_mov_b32_e32 v32, 0x40100000
	v_cndmask_b32_e32 v38, 0, v32, vcc
	v_add_f64 v[26:27], v[26:27], v[37:38]
	s_waitcnt vmcnt(0)
	v_add_f64 v[32:33], v[8:9], v[26:27]
	v_cvt_i32_f64_e32 v36, v[32:33]
	v_cvt_f64_i32_e32 v[32:33], v36
	v_add_f64 v[26:27], v[26:27], -v[32:33]
	v_add_f64 v[32:33], v[8:9], v[26:27]
	v_add_f64 v[26:27], v[32:33], -v[26:27]
	v_cmp_le_f64_e32 vcc, 0.5, v[32:33]
	v_add_f64 v[8:9], v[8:9], -v[26:27]
	v_mov_b32_e32 v26, 0x3ff00000
	v_cndmask_b32_e32 v38, 0, v26, vcc
	v_mov_b32_e32 v26, v37
	buffer_store_dword v26, off, s[96:99], 0 ; 4-byte Folded Spill
	s_nop 0
	buffer_store_dword v27, off, s[96:99], 0 offset:4 ; 4-byte Folded Spill
	v_add_f64 v[26:27], v[32:33], -v[37:38]
	v_addc_co_u32_e64 v44, s[0:1], 0, v36, vcc
	v_add_f64 v[8:9], v[34:35], v[8:9]
	v_add_f64 v[32:33], v[26:27], v[8:9]
	v_add_f64 v[26:27], v[32:33], -v[26:27]
	v_add_f64 v[8:9], v[8:9], -v[26:27]
	v_mul_f64 v[26:27], v[32:33], s[58:59]
	v_fma_f64 v[34:35], v[32:33], s[58:59], -v[26:27]
	v_fma_f64 v[32:33], v[32:33], s[72:73], v[34:35]
	v_fma_f64 v[32:33], v[8:9], s[58:59], v[32:33]
	v_add_f64 v[8:9], v[26:27], v[32:33]
	v_add_f64 v[26:27], v[8:9], -v[26:27]
	v_add_f64 v[37:38], v[32:33], -v[26:27]
	s_andn2_saveexec_b64 s[0:1], s[2:3]
	s_cbranch_execz .LBB1_164
	s_branch .LBB1_163
.LBB1_162:                              ;   in Loop: Header=BB1_79 Depth=1
	s_andn2_saveexec_b64 s[0:1], s[2:3]
	s_cbranch_execz .LBB1_164
.LBB1_163:                              ;   in Loop: Header=BB1_79 Depth=1
	buffer_load_dword v32, off, s[96:99], 0 offset:24 ; 4-byte Folded Reload
	buffer_load_dword v33, off, s[96:99], 0 offset:28 ; 4-byte Folded Reload
	s_mov_b32 s52, s64
	s_waitcnt vmcnt(0)
	v_mul_f64 v[8:9], |v[32:33]|, s[62:63]
	v_rndne_f64_e32 v[26:27], v[8:9]
	v_fma_f64 v[8:9], v[26:27], s[60:61], |v[32:33]|
	v_mul_f64 v[32:33], v[26:27], s[64:65]
	v_cvt_i32_f64_e32 v44, v[26:27]
	v_fma_f64 v[38:39], v[26:27], s[64:65], v[8:9]
	v_add_f64 v[34:35], v[8:9], v[32:33]
	v_add_f64 v[36:37], v[8:9], -v[34:35]
	v_add_f64 v[34:35], v[34:35], -v[38:39]
	v_add_f64 v[8:9], v[36:37], v[32:33]
	v_fma_f64 v[32:33], v[26:27], s[52:53], v[32:33]
	v_add_f64 v[8:9], v[34:35], v[8:9]
	v_add_f64 v[8:9], v[8:9], -v[32:33]
	v_fma_f64 v[32:33], v[26:27], s[18:19], v[8:9]
	v_add_f64 v[8:9], v[38:39], v[32:33]
	v_add_f64 v[34:35], v[8:9], -v[38:39]
	v_add_f64 v[37:38], v[32:33], -v[34:35]
.LBB1_164:                              ;   in Loop: Header=BB1_79 Depth=1
	s_or_b64 exec, exec, s[0:1]
                                        ; implicit-def: $vgpr43
                                        ; implicit-def: $vgpr33_vgpr34
                                        ; implicit-def: $vgpr35_vgpr36
	s_and_saveexec_b64 s[0:1], s[8:9]
	s_xor_b64 s[2:3], exec, s[0:1]
	s_cbranch_execz .LBB1_166
; %bb.165:                              ;   in Loop: Header=BB1_79 Depth=1
	buffer_load_dword v26, off, s[96:99], 0 offset:24 ; 4-byte Folded Reload
	buffer_load_dword v27, off, s[96:99], 0 offset:28 ; 4-byte Folded Reload
	s_mov_b32 s58, s60
	s_mov_b32 s73, s53
	s_waitcnt vmcnt(0)
	v_cmp_ge_f64_e64 vcc, |v[26:27]|, s[56:57]
	v_cndmask_b32_e32 v32, v48, v31, vcc
	v_cndmask_b32_e32 v31, v26, v30, vcc
	v_mul_f64 v[35:36], v[28:29], v[31:32]
	v_mul_f64 v[33:34], v[16:17], v[31:32]
	v_fma_f64 v[39:40], v[28:29], v[31:32], -v[35:36]
	v_add_f64 v[41:42], v[33:34], v[39:40]
	v_add_f64 v[50:51], v[41:42], -v[33:34]
	v_add_f64 v[48:49], v[35:36], v[41:42]
	v_add_f64 v[39:40], v[39:40], -v[50:51]
	v_add_f64 v[50:51], v[41:42], -v[50:51]
	v_ldexp_f64 v[27:28], v[48:49], -2
	v_add_f64 v[50:51], v[33:34], -v[50:51]
	v_fma_f64 v[33:34], v[16:17], v[31:32], -v[33:34]
	v_add_f64 v[16:17], v[48:49], -v[35:36]
	v_fract_f64_e32 v[29:30], v[27:28]
	v_cmp_neq_f64_e64 vcc, |v[27:28]|, s[74:75]
	v_add_f64 v[39:40], v[39:40], v[50:51]
	v_mul_f64 v[50:51], v[0:1], v[31:32]
	v_add_f64 v[35:36], v[41:42], -v[16:17]
	v_ldexp_f64 v[29:30], v[29:30], 2
	v_add_f64 v[52:53], v[50:51], v[33:34]
	v_fma_f64 v[0:1], v[0:1], v[31:32], -v[50:51]
	v_cndmask_b32_e32 v27, 0, v30, vcc
	v_cndmask_b32_e32 v26, 0, v29, vcc
	v_add_f64 v[58:59], v[52:53], v[39:40]
	v_add_f64 v[16:17], v[35:36], v[58:59]
	v_add_f64 v[41:42], v[58:59], -v[52:53]
	v_add_f64 v[28:29], v[16:17], v[26:27]
	v_add_f64 v[39:40], v[39:40], -v[41:42]
	v_add_f64 v[41:42], v[58:59], -v[41:42]
	;; [unrolled: 1-line block ×3, first 2 shown]
	v_cmp_gt_f64_e32 vcc, 0, v[28:29]
	buffer_load_dword v28, off, s[96:99], 0 ; 4-byte Folded Reload
	buffer_load_dword v29, off, s[96:99], 0 offset:4 ; 4-byte Folded Reload
	v_add_f64 v[41:42], v[52:53], -v[41:42]
	v_add_f64 v[35:36], v[58:59], -v[35:36]
	v_add_f64 v[39:40], v[39:40], v[41:42]
	v_add_f64 v[41:42], v[52:53], -v[50:51]
	v_add_f64 v[33:34], v[33:34], -v[41:42]
	;; [unrolled: 1-line block ×4, first 2 shown]
	v_add_f64 v[33:34], v[33:34], v[41:42]
	v_add_f64 v[33:34], v[33:34], v[39:40]
	v_add_f64 v[0:1], v[0:1], v[33:34]
	v_add_f64 v[0:1], v[35:36], v[0:1]
	s_waitcnt vmcnt(1)
	v_mov_b32_e32 v31, v28
	v_mov_b32_e32 v28, 0x40100000
	v_cndmask_b32_e32 v32, 0, v28, vcc
	v_add_f64 v[26:27], v[26:27], v[31:32]
	s_waitcnt vmcnt(0)
	v_add_f64 v[28:29], v[16:17], v[26:27]
	v_cvt_i32_f64_e32 v30, v[28:29]
	v_cvt_f64_i32_e32 v[28:29], v30
	v_add_f64 v[26:27], v[26:27], -v[28:29]
	v_add_f64 v[28:29], v[16:17], v[26:27]
	v_add_f64 v[26:27], v[28:29], -v[26:27]
	v_cmp_le_f64_e32 vcc, 0.5, v[28:29]
	v_add_f64 v[16:17], v[16:17], -v[26:27]
	v_addc_co_u32_e64 v43, s[0:1], 0, v30, vcc
	v_add_f64 v[0:1], v[0:1], v[16:17]
	v_mov_b32_e32 v16, 0x3ff00000
	v_cndmask_b32_e32 v32, 0, v16, vcc
	v_mov_b32_e32 v16, v31
	buffer_store_dword v16, off, s[96:99], 0 ; 4-byte Folded Spill
	s_nop 0
	buffer_store_dword v17, off, s[96:99], 0 offset:4 ; 4-byte Folded Spill
	v_add_f64 v[16:17], v[28:29], -v[31:32]
	v_add_f64 v[26:27], v[16:17], v[0:1]
	v_add_f64 v[16:17], v[26:27], -v[16:17]
	v_add_f64 v[0:1], v[0:1], -v[16:17]
	v_mul_f64 v[16:17], v[26:27], s[58:59]
	v_fma_f64 v[28:29], v[26:27], s[58:59], -v[16:17]
	v_fma_f64 v[26:27], v[26:27], s[72:73], v[28:29]
	v_fma_f64 v[0:1], v[0:1], s[58:59], v[26:27]
	v_add_f64 v[33:34], v[16:17], v[0:1]
	v_add_f64 v[16:17], v[33:34], -v[16:17]
	v_add_f64 v[35:36], v[0:1], -v[16:17]
	s_andn2_saveexec_b64 s[0:1], s[2:3]
	s_cbranch_execnz .LBB1_167
	s_branch .LBB1_168
.LBB1_166:                              ;   in Loop: Header=BB1_79 Depth=1
	s_andn2_saveexec_b64 s[0:1], s[2:3]
	s_cbranch_execz .LBB1_168
.LBB1_167:                              ;   in Loop: Header=BB1_79 Depth=1
	buffer_load_dword v16, off, s[96:99], 0 offset:24 ; 4-byte Folded Reload
	buffer_load_dword v17, off, s[96:99], 0 offset:28 ; 4-byte Folded Reload
	s_mov_b32 s52, s64
	s_waitcnt vmcnt(0)
	v_mul_f64 v[0:1], |v[16:17]|, s[62:63]
	v_rndne_f64_e32 v[0:1], v[0:1]
	v_fma_f64 v[16:17], v[0:1], s[60:61], |v[16:17]|
	v_mul_f64 v[26:27], v[0:1], s[64:65]
	v_cvt_i32_f64_e32 v43, v[0:1]
	v_add_f64 v[28:29], v[16:17], v[26:27]
	v_add_f64 v[30:31], v[16:17], -v[28:29]
	v_fma_f64 v[16:17], v[0:1], s[64:65], v[16:17]
	v_add_f64 v[30:31], v[30:31], v[26:27]
	v_add_f64 v[28:29], v[28:29], -v[16:17]
	v_fma_f64 v[26:27], v[0:1], s[52:53], v[26:27]
	;; [unrolled: 3-line block ×3, first 2 shown]
	v_add_f64 v[33:34], v[16:17], v[26:27]
	v_add_f64 v[16:17], v[33:34], -v[16:17]
	v_add_f64 v[35:36], v[26:27], -v[16:17]
.LBB1_168:                              ;   in Loop: Header=BB1_79 Depth=1
	s_or_b64 exec, exec, s[0:1]
	buffer_load_dword v58, off, s[96:99], 0 offset:32 ; 4-byte Folded Reload
	buffer_load_dword v59, off, s[96:99], 0 offset:36 ; 4-byte Folded Reload
	v_readlane_b32 s0, v63, 20
	v_readlane_b32 s1, v63, 21
	s_mov_b32 s0, s30
	s_mov_b32 s2, 0x4222de17
	s_mov_b32 s3, 0x3fbdee67
	s_mov_b32 s73, s1
	v_mov_b32_e32 v45, 0x3ff00000
	s_brev_b32 s14, -2
	s_movk_i32 s44, 0x204
	s_waitcnt vmcnt(0)
	v_frexp_mant_f64_e64 v[0:1], |v[58:59]|
	v_cmp_eq_f64_e64 s[4:5], 1.0, v[58:59]
	v_cmp_eq_f64_e64 s[68:69], 0, v[58:59]
	v_cmp_gt_f64_e32 vcc, s[0:1], v[0:1]
	v_cndmask_b32_e64 v16, 0, 1, vcc
	v_ldexp_f64 v[0:1], v[0:1], v16
	v_add_f64 v[16:17], v[0:1], 1.0
	v_add_f64 v[30:31], v[0:1], -1.0
	v_rcp_f64_e32 v[26:27], v[16:17]
	v_add_f64 v[39:40], v[16:17], -1.0
	v_add_f64 v[0:1], v[0:1], -v[39:40]
	v_fma_f64 v[28:29], -v[16:17], v[26:27], 1.0
	v_fma_f64 v[26:27], v[28:29], v[26:27], v[26:27]
	v_fma_f64 v[28:29], -v[16:17], v[26:27], 1.0
	v_fma_f64 v[26:27], v[28:29], v[26:27], v[26:27]
	v_mul_f64 v[28:29], v[30:31], v[26:27]
	v_mul_f64 v[41:42], v[16:17], v[28:29]
	v_fma_f64 v[16:17], v[28:29], v[16:17], -v[41:42]
	v_fma_f64 v[0:1], v[28:29], v[0:1], v[16:17]
	v_add_f64 v[16:17], v[41:42], v[0:1]
	v_add_f64 v[39:40], v[30:31], -v[16:17]
	v_add_f64 v[41:42], v[16:17], -v[41:42]
	;; [unrolled: 1-line block ×5, first 2 shown]
	v_add_f64 v[0:1], v[0:1], v[16:17]
	v_add_f64 v[0:1], v[39:40], v[0:1]
	buffer_load_dword v39, off, s[96:99], 0 offset:504 ; 4-byte Folded Reload
	buffer_load_dword v40, off, s[96:99], 0 offset:508 ; 4-byte Folded Reload
	v_mul_f64 v[0:1], v[26:27], v[0:1]
	v_add_f64 v[16:17], v[28:29], v[0:1]
	v_add_f64 v[26:27], v[16:17], -v[28:29]
	v_mul_f64 v[28:29], v[16:17], v[16:17]
	v_add_f64 v[0:1], v[0:1], -v[26:27]
	v_fma_f64 v[26:27], v[16:17], v[16:17], -v[28:29]
	v_add_f64 v[30:31], v[0:1], v[0:1]
	v_fma_f64 v[26:27], v[16:17], v[30:31], v[26:27]
	v_add_f64 v[30:31], v[28:29], v[26:27]
	v_add_f64 v[28:29], v[30:31], -v[28:29]
	v_mul_f64 v[50:51], v[16:17], v[30:31]
	v_add_f64 v[26:27], v[26:27], -v[28:29]
	s_waitcnt vmcnt(0)
	v_fma_f64 v[39:40], v[30:31], s[2:3], v[39:40]
	s_mov_b32 s2, 0x3abe935a
	s_mov_b32 s3, 0x3fbe25e4
	v_fma_f64 v[39:40], v[30:31], v[39:40], s[2:3]
	s_mov_b32 s2, 0x47e6c9c2
	s_mov_b32 s3, 0x3fc110ef
	;; [unrolled: 3-line block ×7, first 2 shown]
	v_fma_f64 v[39:40], v[30:31], v[39:40], s[2:3]
	v_mul_f64 v[41:42], v[30:31], v[39:40]
	v_fma_f64 v[28:29], v[30:31], v[39:40], -v[41:42]
	v_fma_f64 v[28:29], v[26:27], v[39:40], v[28:29]
	v_add_f64 v[39:40], v[41:42], v[28:29]
	v_add_f64 v[48:49], v[39:40], s[0:1]
	v_add_f64 v[41:42], v[39:40], -v[41:42]
	v_readlane_b32 s0, v63, 8
	v_readlane_b32 s1, v63, 9
	s_mov_b32 s0, s30
	s_mov_b32 s3, s1
	v_writelane_b32 v63, s2, 8
	v_writelane_b32 v63, s3, 9
	v_add_f64 v[52:53], v[48:49], s[0:1]
	v_add_f64 v[28:29], v[28:29], -v[41:42]
	v_fma_f64 v[41:42], v[30:31], v[16:17], -v[50:51]
	s_mov_b32 s0, 0xd5df274d
	s_mov_b32 s1, 0x3c8543b0
	;; [unrolled: 1-line block ×4, first 2 shown]
	v_add_f64 v[39:40], v[39:40], -v[52:53]
	v_add_f64 v[28:29], v[28:29], s[0:1]
	v_fma_f64 v[30:31], v[30:31], v[0:1], v[41:42]
	s_mov_b32 s0, 0xfefa39ef
	s_mov_b32 s1, 0x3fe62e42
	v_ldexp_f64 v[0:1], v[0:1], 1
	buffer_load_dword v52, off, s[96:99], 0 offset:512 ; 4-byte Folded Reload
	buffer_load_dword v53, off, s[96:99], 0 offset:516 ; 4-byte Folded Reload
	v_add_f64 v[28:29], v[28:29], v[39:40]
	v_fma_f64 v[26:27], v[26:27], v[16:17], v[30:31]
	v_ldexp_f64 v[16:17], v[16:17], 1
	v_add_f64 v[30:31], v[48:49], v[28:29]
	v_add_f64 v[39:40], v[50:51], v[26:27]
	v_add_f64 v[41:42], v[48:49], -v[30:31]
	v_mul_f64 v[48:49], v[39:40], v[30:31]
	v_add_f64 v[50:51], v[39:40], -v[50:51]
	v_add_f64 v[28:29], v[28:29], v[41:42]
	v_fma_f64 v[41:42], v[39:40], v[30:31], -v[48:49]
	v_add_f64 v[26:27], v[26:27], -v[50:51]
	v_fma_f64 v[28:29], v[39:40], v[28:29], v[41:42]
	v_fma_f64 v[26:27], v[26:27], v[30:31], v[28:29]
	v_frexp_exp_i32_f64_e32 v30, v[58:59]
	v_add_f64 v[28:29], v[48:49], v[26:27]
	v_subbrev_co_u32_e32 v32, vcc, 0, v30, vcc
	v_cvt_f64_i32_e32 v[41:42], v32
	v_add_f64 v[30:31], v[16:17], v[28:29]
	v_add_f64 v[39:40], v[28:29], -v[48:49]
	v_mul_f64 v[48:49], v[41:42], s[0:1]
	v_add_f64 v[16:17], v[30:31], -v[16:17]
	v_add_f64 v[26:27], v[26:27], -v[39:40]
	v_fma_f64 v[39:40], v[41:42], s[0:1], -v[48:49]
	v_add_f64 v[16:17], v[28:29], -v[16:17]
	v_add_f64 v[0:1], v[0:1], v[26:27]
	v_fma_f64 v[26:27], v[41:42], s[2:3], v[39:40]
	v_add_f64 v[0:1], v[0:1], v[16:17]
	v_add_f64 v[16:17], v[48:49], v[26:27]
	;; [unrolled: 1-line block ×3, first 2 shown]
	v_add_f64 v[48:49], v[16:17], -v[48:49]
	v_add_f64 v[39:40], v[16:17], v[28:29]
	v_add_f64 v[30:31], v[28:29], -v[30:31]
	v_add_f64 v[26:27], v[26:27], -v[48:49]
	;; [unrolled: 1-line block ×6, first 2 shown]
	v_add_f64 v[30:31], v[26:27], v[0:1]
	v_add_f64 v[16:17], v[16:17], -v[50:51]
	v_add_f64 v[16:17], v[28:29], v[16:17]
	v_add_f64 v[28:29], v[30:31], -v[26:27]
	;; [unrolled: 2-line block ×3, first 2 shown]
	v_add_f64 v[0:1], v[0:1], -v[28:29]
	v_add_f64 v[41:42], v[39:40], v[16:17]
	v_add_f64 v[26:27], v[26:27], -v[30:31]
	v_add_f64 v[28:29], v[41:42], -v[39:40]
	v_add_f64 v[0:1], v[0:1], v[26:27]
	v_add_f64 v[16:17], v[16:17], -v[28:29]
	v_add_f64 v[16:17], v[0:1], v[16:17]
	v_mov_b32_e32 v0, 0xbfeae147
	v_cndmask_b32_e64 v1, v0, v45, s[4:5]
	v_mov_b32_e32 v0, 0xae147ae1
	v_writelane_b32 v63, s4, 40
	v_cndmask_b32_e64 v0, v0, 0, s[4:5]
	v_writelane_b32 v63, s5, 41
	s_movk_i32 s4, 0x204
	v_add_f64 v[27:28], v[41:42], v[16:17]
	v_readlane_b32 s8, v63, 10
	v_readlane_b32 s9, v63, 11
	v_add_f64 v[29:30], v[27:28], -v[41:42]
	v_mul_f64 v[39:40], v[0:1], v[27:28]
	v_add_f64 v[31:32], v[16:17], -v[29:30]
	v_fma_f64 v[16:17], v[0:1], v[27:28], -v[39:40]
	v_cmp_class_f64_e64 vcc, v[39:40], s4
	v_fma_f64 v[16:17], v[0:1], v[31:32], v[16:17]
	v_add_f64 v[29:30], v[39:40], v[16:17]
	v_cndmask_b32_e32 v42, v30, v40, vcc
	v_cndmask_b32_e32 v41, v29, v39, vcc
	v_mul_f64 v[48:49], v[41:42], s[8:9]
	v_readlane_b32 s8, v63, 12
	v_readlane_b32 s9, v63, 13
	s_mov_b32 s1, s9
	s_mov_b32 s3, s9
	v_writelane_b32 v63, s2, 12
	v_writelane_b32 v63, s3, 13
	v_add_f64 v[29:30], v[29:30], -v[39:40]
	v_rndne_f64_e32 v[48:49], v[48:49]
	v_cmp_neq_f64_e64 vcc, |v[41:42]|, s[74:75]
	v_cmp_gt_f64_e64 s[8:9], 0, v[0:1]
	v_add_f64 v[16:17], v[16:17], -v[29:30]
	v_fma_f64 v[50:51], v[48:49], s[0:1], v[41:42]
	v_readlane_b32 s0, v63, 14
	v_readlane_b32 s1, v63, 15
	s_mov_b32 s3, s1
	v_writelane_b32 v63, s0, 14
	v_writelane_b32 v63, s1, 15
	s_mov_b32 s0, 0x6a5dcb37
	s_mov_b32 s1, 0x3e5ade15
	v_fma_f64 v[50:51], v[48:49], s[2:3], v[50:51]
	v_cvt_i32_f64_e32 v26, v[48:49]
	v_mul_f64 v[48:49], v[0:1], 0.5
	s_mov_b32 s2, 0
	s_mov_b32 s3, 0xc090cc00
	v_cmp_ngt_f64_e64 s[2:3], s[2:3], v[41:42]
	v_cndmask_b32_e32 v17, 0, v17, vcc
	v_cndmask_b32_e32 v16, 0, v16, vcc
	s_waitcnt vmcnt(0)
	v_fma_f64 v[52:53], v[50:51], s[0:1], v[52:53]
	s_mov_b32 s0, 0x623fde64
	s_mov_b32 s1, 0x3ec71dee
	v_trunc_f64_e32 v[29:30], v[48:49]
	v_fma_f64 v[52:53], v[50:51], v[52:53], s[0:1]
	s_mov_b32 s0, 0x7c89e6b0
	s_mov_b32 s1, 0x3efa0199
	v_fma_f64 v[52:53], v[50:51], v[52:53], s[0:1]
	s_mov_b32 s0, 0x14761f6e
	s_mov_b32 s1, 0x3f2a01a0
	;; [unrolled: 3-line block ×3, first 2 shown]
	v_fma_f64 v[52:53], v[50:51], v[52:53], s[0:1]
	v_readlane_b32 s0, v63, 16
	v_readlane_b32 s1, v63, 17
	s_mov_b32 s1, s43
	s_mov_b32 s52, s0
	v_fma_f64 v[52:53], v[50:51], v[52:53], s[0:1]
	v_readlane_b32 s0, v63, 18
	v_readlane_b32 s1, v63, 19
	s_mov_b32 s1, s31
	s_mov_b32 s58, s0
	v_fma_f64 v[52:53], v[50:51], v[52:53], s[0:1]
	s_mov_b32 s0, 0x55555511
	s_mov_b32 s1, 0x3fc55555
	v_fma_f64 v[52:53], v[50:51], v[52:53], s[0:1]
	;; [unrolled: 3-line block ×3, first 2 shown]
	s_mov_b32 s0, 0
	s_mov_b32 s1, 0x40900000
	v_cmp_nlt_f64_e64 s[0:1], s[0:1], v[41:42]
	v_trunc_f64_e32 v[41:42], v[0:1]
	v_fma_f64 v[52:53], v[50:51], v[52:53], 1.0
	s_and_b64 vcc, s[2:3], s[0:1]
	v_fma_f64 v[50:51], v[50:51], v[52:53], 1.0
	v_ldexp_f64 v[39:40], v[50:51], v26
	v_mov_b32_e32 v50, 0x7ff00000
	v_cndmask_b32_e64 v26, v50, v40, s[0:1]
	v_cndmask_b32_e64 v40, 0, v26, s[2:3]
	v_cndmask_b32_e32 v39, 0, v39, vcc
	v_cmp_neq_f64_e32 vcc, v[29:30], v[48:49]
	v_cmp_eq_f64_e64 s[0:1], v[41:42], v[0:1]
	v_fma_f64 v[16:17], v[39:40], v[16:17], v[39:40]
	v_cmp_class_f64_e64 s[2:3], v[39:40], s4
	s_and_b64 vcc, s[0:1], vcc
	v_cndmask_b32_e32 v29, 0, v59, vcc
	v_cndmask_b32_e64 v0, v17, v40, s[2:3]
	v_cndmask_b32_e32 v17, v45, v59, vcc
	v_cndmask_b32_e64 v16, v16, v39, s[2:3]
	v_bfi_b32 v0, s14, v0, v17
	v_cndmask_b32_e64 v1, 0, v16, s[0:1]
	v_cndmask_b32_e64 v17, v54, v0, s[0:1]
	v_cmp_gt_f64_e64 s[0:1], 0, v[58:59]
	v_cmp_class_f64_e64 s[2:3], v[58:59], s4
	s_xor_b64 s[4:5], s[68:69], s[8:9]
	v_cndmask_b32_e64 v26, v50, 0, s[4:5]
	v_bfi_b32 v26, s14, v26, v29
	s_mov_b32 s4, 0x635807cb
	s_mov_b32 s5, 0x3a520b02
	v_mov_b32_e32 v45, 0x7ff00000
	v_cndmask_b32_e64 v17, v0, v17, s[0:1]
	v_writelane_b32 v63, s0, 42
	v_writelane_b32 v63, s1, 43
	;; [unrolled: 1-line block ×3, first 2 shown]
	v_cndmask_b32_e64 v0, v16, v1, s[0:1]
	v_writelane_b32 v63, s69, 39
	s_or_b64 s[0:1], s[68:69], s[2:3]
	s_mov_b32 s2, 0x12000000
	v_cndmask_b32_e64 v0, v0, 0, s[0:1]
	v_writelane_b32 v63, s0, 20
	v_cndmask_b32_e64 v1, v17, v26, s[0:1]
	s_mov_b32 s3, 0x4243ca65
	v_mul_f64 v[0:1], v[0:1], s[2:3]
	s_mov_b32 s2, 0x9cd9fbd6
	s_mov_b32 s3, 0x3ca3e5ba
	v_writelane_b32 v63, s1, 21
	v_mul_f64 v[16:17], v[0:1], s[2:3]
	v_div_scale_f64 v[29:30], s[2:3], s[4:5], s[4:5], v[16:17]
	v_rcp_f64_e32 v[39:40], v[29:30]
	v_fma_f64 v[41:42], -v[29:30], v[39:40], 1.0
	v_fma_f64 v[39:40], v[39:40], v[41:42], v[39:40]
	v_div_scale_f64 v[41:42], vcc, v[16:17], s[4:5], v[16:17]
	v_fma_f64 v[48:49], -v[29:30], v[39:40], 1.0
	v_fma_f64 v[39:40], v[39:40], v[48:49], v[39:40]
	v_mul_f64 v[48:49], v[41:42], v[39:40]
	v_fma_f64 v[29:30], -v[29:30], v[48:49], v[41:42]
	v_div_fmas_f64 v[29:30], v[29:30], v[39:40], v[48:49]
	v_div_fixup_f64 v[16:17], v[29:30], s[4:5], v[16:17]
	s_mov_b32 s4, 0xf3a00000
	s_mov_b32 s5, 0x421beb9b
	v_div_scale_f64 v[29:30], s[2:3], s[4:5], s[4:5], v[16:17]
	v_rcp_f64_e32 v[39:40], v[29:30]
	v_fma_f64 v[41:42], -v[29:30], v[39:40], 1.0
	v_fma_f64 v[39:40], v[39:40], v[41:42], v[39:40]
	v_div_scale_f64 v[41:42], vcc, v[16:17], s[4:5], v[16:17]
	v_fma_f64 v[48:49], -v[29:30], v[39:40], 1.0
	v_fma_f64 v[39:40], v[39:40], v[48:49], v[39:40]
	v_mul_f64 v[48:49], v[41:42], v[39:40]
	v_fma_f64 v[29:30], -v[29:30], v[48:49], v[41:42]
	v_div_fmas_f64 v[29:30], v[29:30], v[39:40], v[48:49]
	v_div_fixup_f64 v[16:17], v[29:30], s[4:5], v[16:17]
	v_div_scale_f64 v[29:30], s[2:3], s[4:5], s[4:5], v[16:17]
	v_div_scale_f64 v[48:49], vcc, v[16:17], s[4:5], v[16:17]
	s_mov_b32 s2, 0
	s_mov_b32 s3, 0x40554000
	v_rcp_f64_e32 v[39:40], v[29:30]
	v_fma_f64 v[41:42], -v[29:30], v[39:40], 1.0
	v_fma_f64 v[39:40], v[39:40], v[41:42], v[39:40]
	v_fma_f64 v[41:42], -v[29:30], v[39:40], 1.0
	v_fma_f64 v[39:40], v[39:40], v[41:42], v[39:40]
	v_mul_f64 v[41:42], v[48:49], v[39:40]
	v_fma_f64 v[29:30], -v[29:30], v[41:42], v[48:49]
	v_div_fmas_f64 v[29:30], v[29:30], v[39:40], v[41:42]
	v_div_fixup_f64 v[16:17], v[29:30], s[4:5], v[16:17]
                                        ; implicit-def: $vgpr29_vgpr30
	v_cmp_nlt_f64_e32 vcc, s[2:3], v[16:17]
	s_and_saveexec_b64 s[2:3], vcc
	s_xor_b64 s[2:3], exec, s[2:3]
	s_cbranch_execz .LBB1_172
; %bb.169:                              ;   in Loop: Header=BB1_79 Depth=1
	buffer_load_dword v29, off, s[96:99], 0 offset:576 ; 4-byte Folded Reload
	buffer_load_dword v30, off, s[96:99], 0 offset:580 ; 4-byte Folded Reload
	v_readlane_b32 s4, v63, 26
	v_readlane_b32 s5, v63, 27
	s_mov_b32 s4, s90
	v_writelane_b32 v63, s4, 26
	v_cmp_ngt_f64_e32 vcc, s[4:5], v[16:17]
	v_writelane_b32 v63, s5, 27
	s_and_saveexec_b64 s[4:5], vcc
	s_cbranch_execz .LBB1_171
; %bb.170:                              ;   in Loop: Header=BB1_79 Depth=1
	v_readlane_b32 s68, v63, 26
	v_readlane_b32 s69, v63, 27
	s_waitcnt vmcnt(0)
	v_div_scale_f64 v[29:30], s[8:9], s[68:69], s[68:69], v[16:17]
	s_mov_b32 s9, s73
	s_mov_b32 s8, s30
	v_readlane_b32 s74, v63, 28
	v_readlane_b32 s75, v63, 29
	s_mov_b32 s0, 0x3b39803f
	s_mov_b32 s1, 0x3c7abc9e
	v_rcp_f64_e32 v[39:40], v[29:30]
	v_fma_f64 v[41:42], -v[29:30], v[39:40], 1.0
	v_fma_f64 v[39:40], v[39:40], v[41:42], v[39:40]
	v_fma_f64 v[41:42], -v[29:30], v[39:40], 1.0
	v_fma_f64 v[39:40], v[39:40], v[41:42], v[39:40]
	v_div_scale_f64 v[41:42], vcc, v[16:17], s[68:69], v[16:17]
	v_mul_f64 v[48:49], v[41:42], v[39:40]
	v_fma_f64 v[29:30], -v[29:30], v[48:49], v[41:42]
	s_nop 1
	v_div_fmas_f64 v[29:30], v[29:30], v[39:40], v[48:49]
	v_div_fixup_f64 v[29:30], v[29:30], s[68:69], v[16:17]
	s_mov_b32 s68, 0xbf559e2b
	s_mov_b32 s69, 0x3fc3ab76
	v_frexp_mant_f64_e32 v[39:40], v[29:30]
	v_frexp_exp_i32_f64_e32 v26, v[29:30]
	v_cmp_gt_f64_e32 vcc, s[8:9], v[39:40]
	s_mov_b32 s8, s74
	v_writelane_b32 v63, s8, 28
	v_writelane_b32 v63, s9, 29
	v_cndmask_b32_e64 v41, 0, 1, vcc
	v_ldexp_f64 v[40:41], v[39:40], v41
	v_subbrev_co_u32_e32 v39, vcc, 0, v26, vcc
	v_cmp_class_f64_e64 vcc, v[29:30], s44
	v_mov_b32_e32 v26, 0xfff00000
	v_add_f64 v[50:51], v[40:41], 1.0
	v_add_f64 v[48:49], v[40:41], -1.0
	v_add_f64 v[52:53], v[50:51], -1.0
	v_add_f64 v[40:41], v[40:41], -v[52:53]
	v_rcp_f64_e32 v[52:53], v[50:51]
	v_fma_f64 v[54:55], -v[50:51], v[52:53], 1.0
	v_fma_f64 v[52:53], v[54:55], v[52:53], v[52:53]
	v_fma_f64 v[54:55], -v[50:51], v[52:53], 1.0
	v_fma_f64 v[52:53], v[54:55], v[52:53], v[52:53]
	v_mul_f64 v[54:55], v[48:49], v[52:53]
	v_mul_f64 v[58:59], v[50:51], v[54:55]
	v_fma_f64 v[50:51], v[54:55], v[50:51], -v[58:59]
	v_fma_f64 v[40:41], v[54:55], v[40:41], v[50:51]
	v_add_f64 v[50:51], v[58:59], v[40:41]
	v_add_f64 v[60:61], v[48:49], -v[50:51]
	v_add_f64 v[58:59], v[50:51], -v[58:59]
	;; [unrolled: 1-line block ×5, first 2 shown]
	v_add_f64 v[40:41], v[40:41], v[48:49]
	v_add_f64 v[40:41], v[60:61], v[40:41]
	v_mul_f64 v[40:41], v[52:53], v[40:41]
	buffer_load_dword v52, off, s[96:99], 0 offset:584 ; 4-byte Folded Reload
	buffer_load_dword v53, off, s[96:99], 0 offset:588 ; 4-byte Folded Reload
	v_add_f64 v[48:49], v[54:55], v[40:41]
	v_add_f64 v[50:51], v[48:49], -v[54:55]
	v_ldexp_f64 v[54:55], v[48:49], 1
	v_add_f64 v[40:41], v[40:41], -v[50:51]
	v_mul_f64 v[50:51], v[48:49], v[48:49]
	v_ldexp_f64 v[40:41], v[40:41], 1
	v_mul_f64 v[48:49], v[48:49], v[50:51]
	s_waitcnt vmcnt(0)
	v_fma_f64 v[52:53], v[50:51], s[68:69], v[52:53]
	s_mov_b32 s68, 0xd7f4df2e
	s_mov_b32 s69, 0x3fc7474d
	v_fma_f64 v[52:53], v[50:51], v[52:53], s[68:69]
	s_mov_b32 s68, 0x16291751
	s_mov_b32 s69, 0x3fcc71c0
	;; [unrolled: 3-line block ×3, first 2 shown]
	s_mov_b32 s68, s74
	v_readlane_b32 s74, v63, 30
	s_mov_b32 s8, s74
	v_readlane_b32 s75, v63, 31
	v_writelane_b32 v63, s8, 30
	v_fma_f64 v[52:53], v[50:51], v[52:53], s[68:69]
	s_mov_b32 s68, 0x9999999c
	s_mov_b32 s69, 0x3fd99999
	;; [unrolled: 1-line block ×3, first 2 shown]
	v_writelane_b32 v63, s9, 31
	s_mov_b32 s74, 0x998fffa0
	s_mov_b32 s75, 0x401ba18a
	;; [unrolled: 1-line block ×3, first 2 shown]
	v_fma_f64 v[52:53], v[50:51], v[52:53], s[68:69]
	v_readlane_b32 s68, v63, 32
	s_mov_b32 s8, s68
	v_readlane_b32 s69, v63, 33
	s_mov_b32 s14, s68
	s_mov_b32 s68, 0xfefa39ef
	;; [unrolled: 1-line block ×3, first 2 shown]
	v_writelane_b32 v63, s14, 32
	v_fma_f64 v[52:53], v[50:51], v[52:53], s[8:9]
	v_writelane_b32 v63, s15, 33
	v_mul_f64 v[48:49], v[48:49], v[52:53]
	v_add_f64 v[50:51], v[54:55], v[48:49]
	v_add_f64 v[52:53], v[50:51], -v[54:55]
	v_add_f64 v[48:49], v[48:49], -v[52:53]
	v_add_f64 v[40:41], v[40:41], v[48:49]
	v_add_f64 v[48:49], v[50:51], v[40:41]
	v_add_f64 v[50:51], v[48:49], -v[50:51]
	v_add_f64 v[40:41], v[40:41], -v[50:51]
	v_cvt_f64_i32_e32 v[50:51], v39
	v_mul_f64 v[52:53], v[50:51], s[68:69]
	v_fma_f64 v[54:55], v[50:51], s[68:69], -v[52:53]
	v_fma_f64 v[50:51], v[50:51], s[0:1], v[54:55]
	v_add_f64 v[54:55], v[52:53], v[50:51]
	v_add_f64 v[52:53], v[54:55], -v[52:53]
	v_add_f64 v[50:51], v[50:51], -v[52:53]
	v_add_f64 v[52:53], v[54:55], v[48:49]
	v_add_f64 v[58:59], v[52:53], -v[54:55]
	v_add_f64 v[60:61], v[52:53], -v[58:59]
	;; [unrolled: 1-line block ×4, first 2 shown]
	v_add_f64 v[48:49], v[48:49], v[54:55]
	v_add_f64 v[54:55], v[50:51], v[40:41]
	v_add_f64 v[58:59], v[54:55], -v[50:51]
	v_add_f64 v[60:61], v[54:55], -v[58:59]
	;; [unrolled: 1-line block ×3, first 2 shown]
	v_add_f64 v[41:42], v[54:55], v[48:49]
	v_add_f64 v[50:51], v[50:51], -v[60:61]
	v_add_f64 v[48:49], v[52:53], v[41:42]
	v_add_f64 v[39:40], v[39:40], v[50:51]
	v_add_f64 v[50:51], v[48:49], -v[52:53]
	v_add_f64 v[41:42], v[41:42], -v[50:51]
	v_add_f64 v[39:40], v[39:40], v[41:42]
	v_add_f64 v[39:40], v[48:49], v[39:40]
	v_cndmask_b32_e32 v40, v40, v30, vcc
	v_cndmask_b32_e32 v39, v39, v29, vcc
	v_div_scale_f64 v[41:42], s[8:9], s[74:75], s[74:75], v[39:40]
	s_mov_b32 s8, 0
	s_mov_b32 s9, 0x40490000
	v_rcp_f64_e32 v[48:49], v[41:42]
	v_fma_f64 v[50:51], -v[41:42], v[48:49], 1.0
	v_fma_f64 v[48:49], v[48:49], v[50:51], v[48:49]
	v_fma_f64 v[50:51], -v[41:42], v[48:49], 1.0
	v_fma_f64 v[48:49], v[48:49], v[50:51], v[48:49]
	v_div_scale_f64 v[50:51], vcc, v[39:40], s[74:75], v[39:40]
	v_mul_f64 v[52:53], v[50:51], v[48:49]
	v_fma_f64 v[41:42], -v[41:42], v[52:53], v[50:51]
	s_nop 1
	v_div_fmas_f64 v[41:42], v[41:42], v[48:49], v[52:53]
	v_cmp_neq_f64_e32 vcc, 0, v[29:30]
	v_div_fixup_f64 v[39:40], v[41:42], s[74:75], v[39:40]
	v_mul_f64 v[39:40], v[39:40], s[8:9]
	s_getpc_b64 s[8:9]
	s_add_u32 s8, s8, _ZL6K2_tab@rel32@lo+4
	s_addc_u32 s9, s9, _ZL6K2_tab@rel32@hi+12
	v_cndmask_b32_e32 v30, v26, v40, vcc
	v_cndmask_b32_e32 v29, 0, v39, vcc
	v_floor_f64_e32 v[39:40], v[29:30]
	v_mov_b32_e32 v26, s9
	v_cvt_i32_f64_e32 v39, v[39:40]
	v_cvt_f64_i32_e32 v[40:41], v39
	v_add_f64 v[29:30], v[29:30], -v[40:41]
	v_ashrrev_i32_e32 v40, 31, v39
	v_lshlrev_b64 v[39:40], 3, v[39:40]
	v_add_co_u32_e32 v39, vcc, s8, v39
	v_addc_co_u32_e32 v40, vcc, v26, v40, vcc
	global_load_dwordx4 v[39:42], v[39:40], off
	v_add_f64 v[48:49], -v[29:30], 1.0
	v_readlane_b32 s8, v63, 6
	v_readlane_b32 s9, v63, 7
	s_mov_b32 vcc_hi, s9
	s_mov_b32 s8, 0x652b82fe
	s_mov_b32 s9, 0xbff71547
	s_mov_b32 vcc_lo, s8
	s_mov_b32 s9, vcc_hi
	v_writelane_b32 v63, s8, 6
	v_writelane_b32 v63, s9, 7
	v_readlane_b32 s8, v63, 12
	v_readlane_b32 s9, v63, 13
	s_mov_b32 s69, s9
	v_writelane_b32 v63, s8, 12
	v_writelane_b32 v63, s9, 13
	v_readlane_b32 s8, v63, 14
	v_readlane_b32 s9, v63, 15
	s_waitcnt vmcnt(0)
	v_mul_f64 v[29:30], v[29:30], v[41:42]
	v_fma_f64 v[29:30], v[48:49], v[39:40], v[29:30]
	buffer_load_dword v48, off, s[96:99], 0 offset:512 ; 4-byte Folded Reload
	buffer_load_dword v49, off, s[96:99], 0 offset:516 ; 4-byte Folded Reload
	v_mul_f64 v[39:40], v[29:30], vcc
	v_rndne_f64_e32 v[39:40], v[39:40]
	v_fma_f64 v[41:42], v[39:40], s[68:69], v[29:30]
	s_mov_b32 s69, s9
	s_mov_b32 s68, s0
	v_writelane_b32 v63, s8, 14
	v_writelane_b32 v63, s9, 15
	s_mov_b32 s8, 0x6a5dcb37
	s_mov_b32 s9, 0x3e5ade15
	v_cvt_i32_f64_e32 v26, v[39:40]
	v_fma_f64 v[41:42], v[39:40], s[68:69], v[41:42]
	s_waitcnt vmcnt(0)
	v_fma_f64 v[48:49], v[41:42], s[8:9], v[48:49]
	s_mov_b32 s8, 0x623fde64
	s_mov_b32 s9, 0x3ec71dee
	v_fma_f64 v[48:49], v[41:42], v[48:49], s[8:9]
	s_mov_b32 s8, 0x7c89e6b0
	s_mov_b32 s9, 0x3efa0199
	;; [unrolled: 3-line block ×9, first 2 shown]
	v_cmp_nlt_f64_e32 vcc, s[8:9], v[29:30]
	s_mov_b32 s8, 0
	s_mov_b32 s9, 0xc090cc00
	v_cmp_ngt_f64_e64 s[8:9], s[8:9], v[29:30]
	v_fma_f64 v[48:49], v[41:42], v[48:49], 1.0
	v_fma_f64 v[41:42], v[41:42], v[48:49], 1.0
	v_ldexp_f64 v[39:40], v[41:42], v26
	v_cndmask_b32_e32 v26, v45, v40, vcc
	s_and_b64 vcc, s[8:9], vcc
	v_cndmask_b32_e32 v29, 0, v39, vcc
	v_cndmask_b32_e64 v30, 0, v26, s[8:9]
.LBB1_171:                              ;   in Loop: Header=BB1_79 Depth=1
	s_or_b64 exec, exec, s[4:5]
.LBB1_172:                              ;   in Loop: Header=BB1_79 Depth=1
	s_andn2_saveexec_b64 s[2:3], s[2:3]
	s_cbranch_execz .LBB1_77
; %bb.173:                              ;   in Loop: Header=BB1_79 Depth=1
	s_waitcnt vmcnt(0)
	v_add_f64 v[29:30], v[16:17], v[16:17]
	v_mul_f64 v[29:30], v[16:17], v[29:30]
	s_branch .LBB1_77
.LBB1_174:
	v_readlane_b32 s0, v63, 22
	v_readlane_b32 s1, v63, 23
	s_or_b64 exec, exec, s[0:1]
	v_readlane_b32 s0, v63, 0
	v_readlane_b32 s1, v63, 1
	v_mul_f64 v[0:1], s[0:1], 0.5
	s_mov_b32 s0, 0x7b2969f6
	s_mov_b32 s1, 0x3df0a49b
	v_div_scale_f64 v[2:3], s[2:3], v[0:1], v[0:1], s[0:1]
	v_readlane_b32 s2, v63, 4
	v_readlane_b32 s3, v63, 5
	v_rcp_f64_e32 v[4:5], v[2:3]
	v_fma_f64 v[6:7], -v[2:3], v[4:5], 1.0
	v_fma_f64 v[4:5], v[4:5], v[6:7], v[4:5]
	v_div_scale_f64 v[6:7], vcc, s[0:1], v[0:1], s[0:1]
	v_fma_f64 v[8:9], -v[2:3], v[4:5], 1.0
	v_fma_f64 v[4:5], v[4:5], v[8:9], v[4:5]
	v_mul_f64 v[8:9], v[6:7], v[4:5]
	v_fma_f64 v[2:3], -v[2:3], v[8:9], v[6:7]
	v_div_fmas_f64 v[2:3], v[2:3], v[4:5], v[8:9]
	v_div_fixup_f64 v[2:3], v[2:3], v[0:1], s[0:1]
	v_mul_f64 v[2:3], v[2:3], s[0:1]
	v_div_scale_f64 v[4:5], s[0:1], v[0:1], v[0:1], v[2:3]
	s_mov_b32 s0, 0x208d29e
	s_mov_b32 s1, 0x449637f1
	v_rcp_f64_e32 v[6:7], v[4:5]
	v_fma_f64 v[8:9], -v[4:5], v[6:7], 1.0
	v_fma_f64 v[6:7], v[6:7], v[8:9], v[6:7]
	v_div_scale_f64 v[8:9], vcc, v[2:3], v[0:1], v[2:3]
	v_fma_f64 v[10:11], -v[4:5], v[6:7], 1.0
	v_fma_f64 v[6:7], v[6:7], v[10:11], v[6:7]
	v_mul_f64 v[10:11], v[8:9], v[6:7]
	v_fma_f64 v[4:5], -v[4:5], v[10:11], v[8:9]
	v_div_fmas_f64 v[4:5], v[4:5], v[6:7], v[10:11]
	v_div_fixup_f64 v[0:1], v[4:5], v[0:1], v[2:3]
	buffer_load_dword v2, off, s[96:99], 0 offset:520 ; 4-byte Folded Reload
	buffer_load_dword v3, off, s[96:99], 0 offset:524 ; 4-byte Folded Reload
	;; [unrolled: 1-line block ×4, first 2 shown]
	s_waitcnt vmcnt(0)
	v_mov_b32_e32 v5, 0
	v_mul_f64 v[0:1], v[0:1], s[0:1]
	v_mul_f64 v[0:1], v[0:1], s[0:1]
	s_mov_b32 s0, 0x53c8d4f1
	s_mov_b32 s1, 0x400921fb
	v_mul_f64 v[0:1], v[0:1], 4.0
	v_mul_f64 v[0:1], v[0:1], s[0:1]
	v_readlane_b32 s0, v63, 2
	v_readlane_b32 s1, v63, 3
	v_mul_f64 v[0:1], v[0:1], s[2:3]
	v_add_u32_e32 v4, 2, v4
	v_mul_f64 v[2:3], s[2:3], v[2:3]
	v_mul_f64 v[2:3], s[2:3], v[2:3]
	;; [unrolled: 1-line block ×4, first 2 shown]
	v_lshlrev_b64 v[2:3], 3, v[4:5]
	v_mov_b32_e32 v4, s1
	v_add_co_u32_e32 v2, vcc, s0, v2
	v_addc_co_u32_e32 v3, vcc, v4, v3, vcc
	global_store_dwordx2 v[2:3], v[0:1], off
.LBB1_175:
	s_endpgm
	.section	.rodata,"a",@progbits
	.p2align	6, 0x0
	.amdhsa_kernel _Z5task2PdS_ii
		.amdhsa_group_segment_fixed_size 0
		.amdhsa_private_segment_fixed_size 604
		.amdhsa_kernarg_size 280
		.amdhsa_user_sgpr_count 6
		.amdhsa_user_sgpr_private_segment_buffer 1
		.amdhsa_user_sgpr_dispatch_ptr 0
		.amdhsa_user_sgpr_queue_ptr 0
		.amdhsa_user_sgpr_kernarg_segment_ptr 1
		.amdhsa_user_sgpr_dispatch_id 0
		.amdhsa_user_sgpr_flat_scratch_init 0
		.amdhsa_user_sgpr_private_segment_size 0
		.amdhsa_uses_dynamic_stack 0
		.amdhsa_system_sgpr_private_segment_wavefront_offset 1
		.amdhsa_system_sgpr_workgroup_id_x 1
		.amdhsa_system_sgpr_workgroup_id_y 1
		.amdhsa_system_sgpr_workgroup_id_z 0
		.amdhsa_system_sgpr_workgroup_info 0
		.amdhsa_system_vgpr_workitem_id 1
		.amdhsa_next_free_vgpr 64
		.amdhsa_next_free_sgpr 100
		.amdhsa_reserve_vcc 1
		.amdhsa_reserve_flat_scratch 0
		.amdhsa_float_round_mode_32 0
		.amdhsa_float_round_mode_16_64 0
		.amdhsa_float_denorm_mode_32 3
		.amdhsa_float_denorm_mode_16_64 3
		.amdhsa_dx10_clamp 1
		.amdhsa_ieee_mode 1
		.amdhsa_fp16_overflow 0
		.amdhsa_exception_fp_ieee_invalid_op 0
		.amdhsa_exception_fp_denorm_src 0
		.amdhsa_exception_fp_ieee_div_zero 0
		.amdhsa_exception_fp_ieee_overflow 0
		.amdhsa_exception_fp_ieee_underflow 0
		.amdhsa_exception_fp_ieee_inexact 0
		.amdhsa_exception_int_div_zero 0
	.end_amdhsa_kernel
	.text
.Lfunc_end1:
	.size	_Z5task2PdS_ii, .Lfunc_end1-_Z5task2PdS_ii
                                        ; -- End function
	.set _Z5task2PdS_ii.num_vgpr, 64
	.set _Z5task2PdS_ii.num_agpr, 0
	.set _Z5task2PdS_ii.numbered_sgpr, 100
	.set _Z5task2PdS_ii.num_named_barrier, 0
	.set _Z5task2PdS_ii.private_seg_size, 604
	.set _Z5task2PdS_ii.uses_vcc, 1
	.set _Z5task2PdS_ii.uses_flat_scratch, 0
	.set _Z5task2PdS_ii.has_dyn_sized_stack, 0
	.set _Z5task2PdS_ii.has_recursion, 0
	.set _Z5task2PdS_ii.has_indirect_call, 0
	.section	.AMDGPU.csdata,"",@progbits
; Kernel info:
; codeLenInByte = 81596
; TotalNumSgprs: 104
; NumVgprs: 64
; ScratchSize: 604
; MemoryBound: 0
; FloatMode: 240
; IeeeMode: 1
; LDSByteSize: 0 bytes/workgroup (compile time only)
; SGPRBlocks: 12
; VGPRBlocks: 15
; NumSGPRsForWavesPerEU: 104
; NumVGPRsForWavesPerEU: 64
; Occupancy: 4
; WaveLimiterHint : 0
; COMPUTE_PGM_RSRC2:SCRATCH_EN: 1
; COMPUTE_PGM_RSRC2:USER_SGPR: 6
; COMPUTE_PGM_RSRC2:TRAP_HANDLER: 0
; COMPUTE_PGM_RSRC2:TGID_X_EN: 1
; COMPUTE_PGM_RSRC2:TGID_Y_EN: 1
; COMPUTE_PGM_RSRC2:TGID_Z_EN: 0
; COMPUTE_PGM_RSRC2:TIDIG_COMP_CNT: 1
	.section	.AMDGPU.gpr_maximums,"",@progbits
	.set amdgpu.max_num_vgpr, 0
	.set amdgpu.max_num_agpr, 0
	.set amdgpu.max_num_sgpr, 0
	.section	.AMDGPU.csdata,"",@progbits
	.type	_ZL6K2_tab,@object              ; @_ZL6K2_tab
	.section	.rodata,"a",@progbits
	.p2align	4, 0x0
_ZL6K2_tab:
	.quad	0xc0257e76ea422899              ; double -10.747000999999999
	.quad	0xc022b9a2a4db163c              ; double -9.3625690000000005
	.quad	0xc02048620ab71327              ; double -8.1413729999999997
	.quad	0xc01c3f0bae89eba7              ; double -7.0615680000000003
	.quad	0xc0186a8eb463497b              ; double -6.1040599999999996
	.quad	0xc015023465625a68              ; double -5.2521529999999998
	.quad	0xc011f708aac96cc6              ; double -4.491244
	.quad	0xc00e77ebaf102364              ; double -3.8085550000000001
	.quad	0xc0098b13dfb0d520              ; double -3.1929090000000002
	.quad	0xc00513868fd199bb              ; double -2.6345339999999999
	.quad	0xc000ffc7e6b3fea0              ; double -2.1248930000000001
	.quad	0xbffa81333b96af04              ; double -1.6565430000000001
	.quad	0xbff3916fc9bc7714              ; double -1.223007
	.quad	0xbfea32873bc903ea              ; double -0.81866799999999995
	.quad	0xbfdc1344806290ef              ; double -0.43867600000000001
	.quad	0xbfb4305d95dd4c77              ; double -0.078863000000000003
	.quad	0x3fd0ead0c3d25248              ; double 0.26433200000000001
	.quad	0x3fe301797cc39ffd              ; double 0.59392999999999996
	.quad	0x3fed3300de4c5111              ; double 0.91247599999999995
	.quad	0x3ff38db6a1e81cb4              ; double 1.2220979999999999
	.quad	0x3ff8649906cca2db              ; double 1.5245599999999999
	.quad	0x3ffd241700cd8559              ; double 1.8213109999999999
	.quad	0x4000e886162f166e              ; double 2.113537
	.quad	0x400337b0f6ad70e7              ; double 2.402193
	.quad	0x400581205bc01a37              ; double 2.6880500000000001
	.quad	0x4007c615a8deb0fb              ; double 2.9717210000000001
	.quad	0x400a078fabda0dfe              ; double 3.253692
	.quad	0x400c4657b84db9c7              ; double 3.5343469999999999
	.quad	0x400e830a0b1bbcf5              ; double 3.813984
	.quad	0x40105f112fd32c62              ; double 4.0928389999999997
	.quad	0x40117bff8a8f3a9b              ; double 4.371092
	.quad	0x401298750c1b9735              ; double 4.6488839999999998
	.quad	0x4013b48e043a2164              ; double 4.926323
	.quad	0x4014d060780fdc16              ; double 5.2034929999999999
	.quad	0x4015ebfceb78897f              ; double 5.4804570000000004
	.quad	0x4017077036c9c0a9              ; double 5.7572640000000002
	.quad	0x401822c450268901              ; double 6.0339520000000002
	.quad	0x40193e00d1b71759              ; double 6.3105500000000001
	.quad	0x401a592af9a8cdea              ; double 6.587078
	.quad	0x401b74477ff151e7              ; double 6.8635539999999997
	.quad	0x401c8f5989df1173              ; double 7.1399900000000001
	.quad	0x401daa63736cdf26              ; double 7.4163949999999996
	.quad	0x401ec56798958d9b              ; double 7.6927779999999996
	.quad	0x401fe06705c896dd              ; double 7.9691429999999998
	.quad	0x40207db18548a9bd              ; double 8.245495
	.quad	0x40210b2e3821af7d              ; double 8.5218369999999997
	.quad	0x402198a9de8b3b32              ; double 8.798171
	.quad	0x40222624dd2f1aa0              ; double 9.0745000000000005
	.quad	0x4022b39f340d4dc6              ; double 9.3508239999999994
	.quad	0x4023411904b3c3e7              ; double 9.6271439999999994
	.size	_ZL6K2_tab, 400

	.type	__hip_cuid_dad3ff6f3c477f38,@object ; @__hip_cuid_dad3ff6f3c477f38
	.section	.bss,"aw",@nobits
	.globl	__hip_cuid_dad3ff6f3c477f38
__hip_cuid_dad3ff6f3c477f38:
	.byte	0                               ; 0x0
	.size	__hip_cuid_dad3ff6f3c477f38, 1

	.ident	"AMD clang version 22.0.0git (https://github.com/RadeonOpenCompute/llvm-project roc-7.2.4 26084 f58b06dce1f9c15707c5f808fd002e18c2accf7e)"
	.section	".note.GNU-stack","",@progbits
	.addrsig
	.addrsig_sym __hip_cuid_dad3ff6f3c477f38
	.amdgpu_metadata
---
amdhsa.kernels:
  - .args:
      - .actual_access:  write_only
        .address_space:  global
        .offset:         0
        .size:           8
        .value_kind:     global_buffer
      - .actual_access:  read_only
        .address_space:  global
        .offset:         8
        .size:           8
        .value_kind:     global_buffer
      - .offset:         16
        .size:           4
        .value_kind:     by_value
      - .offset:         20
        .size:           4
        .value_kind:     by_value
      - .offset:         24
        .size:           4
        .value_kind:     hidden_block_count_x
      - .offset:         28
        .size:           4
        .value_kind:     hidden_block_count_y
      - .offset:         32
        .size:           4
        .value_kind:     hidden_block_count_z
      - .offset:         36
        .size:           2
        .value_kind:     hidden_group_size_x
      - .offset:         38
        .size:           2
        .value_kind:     hidden_group_size_y
      - .offset:         40
        .size:           2
        .value_kind:     hidden_group_size_z
      - .offset:         42
        .size:           2
        .value_kind:     hidden_remainder_x
      - .offset:         44
        .size:           2
        .value_kind:     hidden_remainder_y
      - .offset:         46
        .size:           2
        .value_kind:     hidden_remainder_z
      - .offset:         64
        .size:           8
        .value_kind:     hidden_global_offset_x
      - .offset:         72
        .size:           8
        .value_kind:     hidden_global_offset_y
      - .offset:         80
        .size:           8
        .value_kind:     hidden_global_offset_z
      - .offset:         88
        .size:           2
        .value_kind:     hidden_grid_dims
    .group_segment_fixed_size: 0
    .kernarg_segment_align: 8
    .kernarg_segment_size: 280
    .language:       OpenCL C
    .language_version:
      - 2
      - 0
    .max_flat_workgroup_size: 1024
    .name:           _Z5task1PdS_ii
    .private_segment_fixed_size: 540
    .sgpr_count:     104
    .sgpr_spill_count: 46
    .symbol:         _Z5task1PdS_ii.kd
    .uniform_work_group_size: 1
    .uses_dynamic_stack: false
    .vgpr_count:     64
    .vgpr_spill_count: 262
    .wavefront_size: 64
  - .args:
      - .actual_access:  write_only
        .address_space:  global
        .offset:         0
        .size:           8
        .value_kind:     global_buffer
      - .actual_access:  read_only
        .address_space:  global
        .offset:         8
        .size:           8
        .value_kind:     global_buffer
      - .offset:         16
        .size:           4
        .value_kind:     by_value
      - .offset:         20
        .size:           4
        .value_kind:     by_value
      - .offset:         24
        .size:           4
        .value_kind:     hidden_block_count_x
      - .offset:         28
        .size:           4
        .value_kind:     hidden_block_count_y
      - .offset:         32
        .size:           4
        .value_kind:     hidden_block_count_z
      - .offset:         36
        .size:           2
        .value_kind:     hidden_group_size_x
      - .offset:         38
        .size:           2
        .value_kind:     hidden_group_size_y
      - .offset:         40
        .size:           2
        .value_kind:     hidden_group_size_z
      - .offset:         42
        .size:           2
        .value_kind:     hidden_remainder_x
      - .offset:         44
        .size:           2
        .value_kind:     hidden_remainder_y
      - .offset:         46
        .size:           2
        .value_kind:     hidden_remainder_z
      - .offset:         64
        .size:           8
        .value_kind:     hidden_global_offset_x
      - .offset:         72
        .size:           8
        .value_kind:     hidden_global_offset_y
      - .offset:         80
        .size:           8
        .value_kind:     hidden_global_offset_z
      - .offset:         88
        .size:           2
        .value_kind:     hidden_grid_dims
    .group_segment_fixed_size: 0
    .kernarg_segment_align: 8
    .kernarg_segment_size: 280
    .language:       OpenCL C
    .language_version:
      - 2
      - 0
    .max_flat_workgroup_size: 1024
    .name:           _Z5task2PdS_ii
    .private_segment_fixed_size: 604
    .sgpr_count:     104
    .sgpr_spill_count: 136
    .symbol:         _Z5task2PdS_ii.kd
    .uniform_work_group_size: 1
    .uses_dynamic_stack: false
    .vgpr_count:     64
    .vgpr_spill_count: 308
    .wavefront_size: 64
amdhsa.target:   amdgcn-amd-amdhsa--gfx906
amdhsa.version:
  - 1
  - 2
...

	.end_amdgpu_metadata
